;; amdgpu-corpus repo=ROCm/composable_kernel kind=compiled arch=gfx90a opt=O3
	.text
	.amdgcn_target "amdgcn-amd-amdhsa--gfx90a"
	.amdhsa_code_object_version 6
	.section	.text._ZN2ckL12flush_icacheEv,"axG",@progbits,_ZN2ckL12flush_icacheEv,comdat
	.globl	_ZN2ckL12flush_icacheEv         ; -- Begin function _ZN2ckL12flush_icacheEv
	.p2align	8
	.type	_ZN2ckL12flush_icacheEv,@function
_ZN2ckL12flush_icacheEv:                ; @_ZN2ckL12flush_icacheEv
; %bb.0:
	;;#ASMSTART
	s_icache_inv 
	s_nop 0 
	s_nop 0 
	;; [unrolled: 1-line block ×16, first 2 shown]
	
	;;#ASMEND
	s_endpgm
	.section	.rodata,"a",@progbits
	.p2align	6, 0x0
	.amdhsa_kernel _ZN2ckL12flush_icacheEv
		.amdhsa_group_segment_fixed_size 0
		.amdhsa_private_segment_fixed_size 0
		.amdhsa_kernarg_size 0
		.amdhsa_user_sgpr_count 4
		.amdhsa_user_sgpr_private_segment_buffer 1
		.amdhsa_user_sgpr_dispatch_ptr 0
		.amdhsa_user_sgpr_queue_ptr 0
		.amdhsa_user_sgpr_kernarg_segment_ptr 0
		.amdhsa_user_sgpr_dispatch_id 0
		.amdhsa_user_sgpr_flat_scratch_init 0
		.amdhsa_user_sgpr_kernarg_preload_length 0
		.amdhsa_user_sgpr_kernarg_preload_offset 0
		.amdhsa_user_sgpr_private_segment_size 0
		.amdhsa_uses_dynamic_stack 0
		.amdhsa_system_sgpr_private_segment_wavefront_offset 0
		.amdhsa_system_sgpr_workgroup_id_x 1
		.amdhsa_system_sgpr_workgroup_id_y 0
		.amdhsa_system_sgpr_workgroup_id_z 0
		.amdhsa_system_sgpr_workgroup_info 0
		.amdhsa_system_vgpr_workitem_id 0
		.amdhsa_next_free_vgpr 1
		.amdhsa_next_free_sgpr 0
		.amdhsa_accum_offset 4
		.amdhsa_reserve_vcc 0
		.amdhsa_reserve_flat_scratch 0
		.amdhsa_float_round_mode_32 0
		.amdhsa_float_round_mode_16_64 0
		.amdhsa_float_denorm_mode_32 3
		.amdhsa_float_denorm_mode_16_64 3
		.amdhsa_dx10_clamp 1
		.amdhsa_ieee_mode 1
		.amdhsa_fp16_overflow 0
		.amdhsa_tg_split 0
		.amdhsa_exception_fp_ieee_invalid_op 0
		.amdhsa_exception_fp_denorm_src 0
		.amdhsa_exception_fp_ieee_div_zero 0
		.amdhsa_exception_fp_ieee_overflow 0
		.amdhsa_exception_fp_ieee_underflow 0
		.amdhsa_exception_fp_ieee_inexact 0
		.amdhsa_exception_int_div_zero 0
	.end_amdhsa_kernel
	.section	.text._ZN2ckL12flush_icacheEv,"axG",@progbits,_ZN2ckL12flush_icacheEv,comdat
.Lfunc_end0:
	.size	_ZN2ckL12flush_icacheEv, .Lfunc_end0-_ZN2ckL12flush_icacheEv
                                        ; -- End function
	.section	.AMDGPU.csdata,"",@progbits
; Kernel info:
; codeLenInByte = 140
; NumSgprs: 4
; NumVgprs: 0
; NumAgprs: 0
; TotalNumVgprs: 0
; ScratchSize: 0
; MemoryBound: 0
; FloatMode: 240
; IeeeMode: 1
; LDSByteSize: 0 bytes/workgroup (compile time only)
; SGPRBlocks: 0
; VGPRBlocks: 0
; NumSGPRsForWavesPerEU: 4
; NumVGPRsForWavesPerEU: 1
; AccumOffset: 4
; Occupancy: 8
; WaveLimiterHint : 0
; COMPUTE_PGM_RSRC2:SCRATCH_EN: 0
; COMPUTE_PGM_RSRC2:USER_SGPR: 4
; COMPUTE_PGM_RSRC2:TRAP_HANDLER: 0
; COMPUTE_PGM_RSRC2:TGID_X_EN: 1
; COMPUTE_PGM_RSRC2:TGID_Y_EN: 0
; COMPUTE_PGM_RSRC2:TGID_Z_EN: 0
; COMPUTE_PGM_RSRC2:TIDIG_COMP_CNT: 0
; COMPUTE_PGM_RSRC3_GFX90A:ACCUM_OFFSET: 0
; COMPUTE_PGM_RSRC3_GFX90A:TG_SPLIT: 0
	.section	.text._ZN2ck27kernel_gemm_xdl_cshuffle_v2INS_28GridwiseGemm_xdl_cshuffle_v2INS_13tensor_layout4gemm8RowMajorES4_S4_DF16_DF16_fDF16_DF16_NS_16tensor_operation12element_wise11PassThroughES7_S7_LNS5_6device18GemmSpecializationE0ELNS_25InMemoryDataOperationEnumE0ELi2ELi256ELi256ELi256ELi32ELi8ELi4ELi16ELi16ELi8ELi8ENS_8SequenceIJLi4ELi64ELi1EEEENSB_IJLi1ELi0ELi2EEEESD_Li2ELi8ELi8ELb0ELi0ENSB_IJLi8ELi32ELi1EEEENSB_IJLi0ELi2ELi1EEEESF_Li1ELi8ELi4ELb0ELi0ELi1ELi1ENSB_IJLi1ELi32ELi1ELi8EEEELi4ELNS_13LoopSchedulerE0ELNS_15PipelineVersionE0EDF16_DF16_EELb1ELi3EEEvNT_8ArgumentE,"axG",@progbits,_ZN2ck27kernel_gemm_xdl_cshuffle_v2INS_28GridwiseGemm_xdl_cshuffle_v2INS_13tensor_layout4gemm8RowMajorES4_S4_DF16_DF16_fDF16_DF16_NS_16tensor_operation12element_wise11PassThroughES7_S7_LNS5_6device18GemmSpecializationE0ELNS_25InMemoryDataOperationEnumE0ELi2ELi256ELi256ELi256ELi32ELi8ELi4ELi16ELi16ELi8ELi8ENS_8SequenceIJLi4ELi64ELi1EEEENSB_IJLi1ELi0ELi2EEEESD_Li2ELi8ELi8ELb0ELi0ENSB_IJLi8ELi32ELi1EEEENSB_IJLi0ELi2ELi1EEEESF_Li1ELi8ELi4ELb0ELi0ELi1ELi1ENSB_IJLi1ELi32ELi1ELi8EEEELi4ELNS_13LoopSchedulerE0ELNS_15PipelineVersionE0EDF16_DF16_EELb1ELi3EEEvNT_8ArgumentE,comdat
	.protected	_ZN2ck27kernel_gemm_xdl_cshuffle_v2INS_28GridwiseGemm_xdl_cshuffle_v2INS_13tensor_layout4gemm8RowMajorES4_S4_DF16_DF16_fDF16_DF16_NS_16tensor_operation12element_wise11PassThroughES7_S7_LNS5_6device18GemmSpecializationE0ELNS_25InMemoryDataOperationEnumE0ELi2ELi256ELi256ELi256ELi32ELi8ELi4ELi16ELi16ELi8ELi8ENS_8SequenceIJLi4ELi64ELi1EEEENSB_IJLi1ELi0ELi2EEEESD_Li2ELi8ELi8ELb0ELi0ENSB_IJLi8ELi32ELi1EEEENSB_IJLi0ELi2ELi1EEEESF_Li1ELi8ELi4ELb0ELi0ELi1ELi1ENSB_IJLi1ELi32ELi1ELi8EEEELi4ELNS_13LoopSchedulerE0ELNS_15PipelineVersionE0EDF16_DF16_EELb1ELi3EEEvNT_8ArgumentE ; -- Begin function _ZN2ck27kernel_gemm_xdl_cshuffle_v2INS_28GridwiseGemm_xdl_cshuffle_v2INS_13tensor_layout4gemm8RowMajorES4_S4_DF16_DF16_fDF16_DF16_NS_16tensor_operation12element_wise11PassThroughES7_S7_LNS5_6device18GemmSpecializationE0ELNS_25InMemoryDataOperationEnumE0ELi2ELi256ELi256ELi256ELi32ELi8ELi4ELi16ELi16ELi8ELi8ENS_8SequenceIJLi4ELi64ELi1EEEENSB_IJLi1ELi0ELi2EEEESD_Li2ELi8ELi8ELb0ELi0ENSB_IJLi8ELi32ELi1EEEENSB_IJLi0ELi2ELi1EEEESF_Li1ELi8ELi4ELb0ELi0ELi1ELi1ENSB_IJLi1ELi32ELi1ELi8EEEELi4ELNS_13LoopSchedulerE0ELNS_15PipelineVersionE0EDF16_DF16_EELb1ELi3EEEvNT_8ArgumentE
	.globl	_ZN2ck27kernel_gemm_xdl_cshuffle_v2INS_28GridwiseGemm_xdl_cshuffle_v2INS_13tensor_layout4gemm8RowMajorES4_S4_DF16_DF16_fDF16_DF16_NS_16tensor_operation12element_wise11PassThroughES7_S7_LNS5_6device18GemmSpecializationE0ELNS_25InMemoryDataOperationEnumE0ELi2ELi256ELi256ELi256ELi32ELi8ELi4ELi16ELi16ELi8ELi8ENS_8SequenceIJLi4ELi64ELi1EEEENSB_IJLi1ELi0ELi2EEEESD_Li2ELi8ELi8ELb0ELi0ENSB_IJLi8ELi32ELi1EEEENSB_IJLi0ELi2ELi1EEEESF_Li1ELi8ELi4ELb0ELi0ELi1ELi1ENSB_IJLi1ELi32ELi1ELi8EEEELi4ELNS_13LoopSchedulerE0ELNS_15PipelineVersionE0EDF16_DF16_EELb1ELi3EEEvNT_8ArgumentE
	.p2align	8
	.type	_ZN2ck27kernel_gemm_xdl_cshuffle_v2INS_28GridwiseGemm_xdl_cshuffle_v2INS_13tensor_layout4gemm8RowMajorES4_S4_DF16_DF16_fDF16_DF16_NS_16tensor_operation12element_wise11PassThroughES7_S7_LNS5_6device18GemmSpecializationE0ELNS_25InMemoryDataOperationEnumE0ELi2ELi256ELi256ELi256ELi32ELi8ELi4ELi16ELi16ELi8ELi8ENS_8SequenceIJLi4ELi64ELi1EEEENSB_IJLi1ELi0ELi2EEEESD_Li2ELi8ELi8ELb0ELi0ENSB_IJLi8ELi32ELi1EEEENSB_IJLi0ELi2ELi1EEEESF_Li1ELi8ELi4ELb0ELi0ELi1ELi1ENSB_IJLi1ELi32ELi1ELi8EEEELi4ELNS_13LoopSchedulerE0ELNS_15PipelineVersionE0EDF16_DF16_EELb1ELi3EEEvNT_8ArgumentE,@function
_ZN2ck27kernel_gemm_xdl_cshuffle_v2INS_28GridwiseGemm_xdl_cshuffle_v2INS_13tensor_layout4gemm8RowMajorES4_S4_DF16_DF16_fDF16_DF16_NS_16tensor_operation12element_wise11PassThroughES7_S7_LNS5_6device18GemmSpecializationE0ELNS_25InMemoryDataOperationEnumE0ELi2ELi256ELi256ELi256ELi32ELi8ELi4ELi16ELi16ELi8ELi8ENS_8SequenceIJLi4ELi64ELi1EEEENSB_IJLi1ELi0ELi2EEEESD_Li2ELi8ELi8ELb0ELi0ENSB_IJLi8ELi32ELi1EEEENSB_IJLi0ELi2ELi1EEEESF_Li1ELi8ELi4ELb0ELi0ELi1ELi1ENSB_IJLi1ELi32ELi1ELi8EEEELi4ELNS_13LoopSchedulerE0ELNS_15PipelineVersionE0EDF16_DF16_EELb1ELi3EEEvNT_8ArgumentE: ; @_ZN2ck27kernel_gemm_xdl_cshuffle_v2INS_28GridwiseGemm_xdl_cshuffle_v2INS_13tensor_layout4gemm8RowMajorES4_S4_DF16_DF16_fDF16_DF16_NS_16tensor_operation12element_wise11PassThroughES7_S7_LNS5_6device18GemmSpecializationE0ELNS_25InMemoryDataOperationEnumE0ELi2ELi256ELi256ELi256ELi32ELi8ELi4ELi16ELi16ELi8ELi8ENS_8SequenceIJLi4ELi64ELi1EEEENSB_IJLi1ELi0ELi2EEEESD_Li2ELi8ELi8ELb0ELi0ENSB_IJLi8ELi32ELi1EEEENSB_IJLi0ELi2ELi1EEEESF_Li1ELi8ELi4ELb0ELi0ELi1ELi1ENSB_IJLi1ELi32ELi1ELi8EEEELi4ELNS_13LoopSchedulerE0ELNS_15PipelineVersionE0EDF16_DF16_EELb1ELi3EEEvNT_8ArgumentE
; %bb.0:
	s_load_dwordx4 s[8:11], s[4:5], 0x10
	s_load_dwordx2 s[20:21], s[4:5], 0x20
	s_load_dword s7, s[4:5], 0x34
	s_load_dwordx4 s[16:19], s[4:5], 0x48
	s_load_dwordx2 s[0:1], s[4:5], 0x58
	s_waitcnt lgkmcnt(0)
	s_add_i32 s2, s8, -1
	s_cmpk_lt_u32 s2, 0x100
	s_mov_b32 s23, 0
	s_cbranch_scc1 .LBB1_4
; %bb.1:
	s_add_i32 s2, s9, -1
	s_cmpk_lt_u32 s2, 0x100
	s_mov_b32 s3, 0
	s_cbranch_scc1 .LBB1_8
; %bb.2:
	s_add_i32 s2, s8, 0xff
	s_ashr_i32 s3, s2, 31
	s_lshr_b32 s3, s3, 24
	s_add_i32 s2, s2, s3
	s_ashr_i32 s5, s2, 8
	s_add_i32 s2, s9, 0xff
	s_ashr_i32 s3, s2, 31
	s_lshr_b32 s3, s3, 24
	s_add_i32 s2, s2, s3
	s_ashr_i32 s4, s2, 8
	s_mul_i32 s2, s4, s5
	s_add_i32 s3, s2, 7
	s_ashr_i32 s12, s3, 31
	s_lshr_b32 s12, s12, 29
	s_add_i32 s3, s3, s12
	s_ashr_i32 s12, s3, 3
	s_and_b32 s3, s3, -8
	s_sub_i32 s13, s2, s3
	s_ashr_i32 s2, s6, 31
	s_lshr_b32 s2, s2, 29
	s_add_i32 s15, s6, s2
	s_and_b32 s2, s15, -8
	s_add_i32 s13, s13, 8
	s_sub_i32 s14, s6, s2
	s_cmp_gt_i32 s14, s13
	s_cbranch_scc1 .LBB1_5
; %bb.3:
	s_mul_i32 s6, s12, s14
	s_ashr_i32 s2, s15, 3
	s_cbranch_execz .LBB1_6
	s_branch .LBB1_7
.LBB1_4:
	s_mov_b32 s2, 0
	s_branch .LBB1_9
.LBB1_5:
                                        ; implicit-def: $sgpr6
	s_ashr_i32 s2, s15, 3
.LBB1_6:
	s_add_i32 s3, s12, -1
	s_mul_i32 s3, s3, s14
	s_add_i32 s6, s13, s3
.LBB1_7:
	s_abs_i32 s3, s4
	v_cvt_f32_u32_e32 v1, s3
	s_sub_i32 s13, 0, s3
	s_add_i32 s2, s6, s2
	s_abs_i32 s12, s2
	v_rcp_iflag_f32_e32 v1, v1
	s_xor_b32 s6, s2, s4
	s_ashr_i32 s6, s6, 31
	v_mul_f32_e32 v1, 0x4f7ffffe, v1
	v_cvt_u32_f32_e32 v1, v1
	v_readfirstlane_b32 s14, v1
	s_mul_i32 s13, s13, s14
	s_mul_hi_u32 s13, s14, s13
	s_add_i32 s14, s14, s13
	s_mul_hi_u32 s13, s12, s14
	s_mul_i32 s14, s13, s3
	s_sub_i32 s12, s12, s14
	s_add_i32 s15, s13, 1
	s_sub_i32 s14, s12, s3
	s_cmp_ge_u32 s12, s3
	s_cselect_b32 s13, s15, s13
	s_cselect_b32 s12, s14, s12
	s_add_i32 s14, s13, 1
	s_cmp_ge_u32 s12, s3
	s_cselect_b32 s3, s14, s13
	s_xor_b32 s3, s3, s6
	s_lshr_b32 s12, s5, 30
	s_sub_i32 s6, s3, s6
	s_add_i32 s12, s5, s12
	s_mul_i32 s3, s6, s4
	s_sub_i32 s2, s2, s3
	s_and_b32 s3, s12, -4
	s_sub_i32 s5, s5, s3
	s_cmp_ge_i32 s6, s3
	s_cselect_b32 s5, s5, 4
	s_abs_i32 s12, s5
	v_cvt_f32_u32_e32 v1, s12
	s_ashr_i32 s3, s6, 31
	s_lshr_b32 s3, s3, 30
	s_add_i32 s3, s6, s3
	v_rcp_iflag_f32_e32 v1, v1
	s_and_b32 s3, s3, -4
	s_sub_i32 s13, s6, s3
	s_sub_i32 s14, 0, s12
	v_mul_f32_e32 v1, 0x4f7ffffe, v1
	v_cvt_u32_f32_e32 v1, v1
	s_mul_i32 s3, s13, s4
	s_add_i32 s2, s3, s2
	s_abs_i32 s4, s2
	v_readfirstlane_b32 s15, v1
	s_mul_i32 s14, s14, s15
	s_mul_hi_u32 s14, s15, s14
	s_add_i32 s15, s15, s14
	s_mul_hi_u32 s14, s4, s15
	s_mul_i32 s15, s14, s12
	s_xor_b32 s3, s2, s5
	s_sub_i32 s4, s4, s15
	s_ashr_i32 s3, s3, 31
	s_add_i32 s15, s14, 1
	s_sub_i32 s22, s4, s12
	s_cmp_ge_u32 s4, s12
	s_cselect_b32 s14, s15, s14
	s_cselect_b32 s4, s22, s4
	s_add_i32 s15, s14, 1
	s_cmp_ge_u32 s4, s12
	s_cselect_b32 s4, s15, s14
	s_xor_b32 s4, s4, s3
	s_sub_i32 s3, s4, s3
	s_mul_i32 s4, s3, s5
	s_sub_i32 s2, s2, s4
	s_add_i32 s2, s2, s6
	s_sub_i32 s6, s2, s13
.LBB1_8:
	s_mov_b32 s2, s6
	s_mov_b32 s6, s3
.LBB1_9:
	s_add_u32 s22, 0, 0
	s_addc_u32 s8, s8, -1
	s_add_u32 s3, 0, 0
	s_addc_u32 s3, s10, 0x7fffffff
	s_lshl_b32 s5, s2, 8
	v_and_b32_e32 v1, 0xfc, v0
	v_and_b32_e32 v4, 63, v0
	;; [unrolled: 1-line block ×3, first 2 shown]
	v_add_u32_e32 v2, s5, v1
	v_lshrrev_b32_e32 v35, 5, v0
	v_sub_u32_e32 v4, v4, v5
	v_lshlrev_b32_e32 v5, 7, v0
	v_and_b32_e32 v7, 0x80, v0
	s_movk_i32 s5, 0x1800
	v_lshlrev_b32_e32 v146, 3, v0
	v_mul_lo_u32 v3, v35, s20
	v_and_or_b32 v38, v5, s5, v7
	s_ashr_i32 s5, s7, 31
	s_mul_i32 s12, s3, s20
	s_lshl_b32 s3, s6, 8
	v_and_b32_e32 v34, 3, v0
	v_mul_lo_u32 v2, v2, s11
	v_and_b32_e32 v36, 0xf8, v146
	v_lshlrev_b32_e32 v3, 2, v3
	v_or_b32_e32 v6, v5, v0
	s_lshr_b32 s5, s5, 30
	s_mov_b32 s24, s11
	s_mov_b32 s25, s20
	s_mul_i32 s4, s8, s11
	v_lshl_add_u32 v2, v34, 3, v2
	v_add3_u32 v3, v3, v36, s3
	v_lshlrev_b32_e32 v37, 3, v4
	v_lshlrev_b32_e32 v39, 2, v4
	v_and_b32_e32 v40, 0x1840, v6
	s_add_i32 s7, s7, s5
	s_ashr_i32 s26, s7, 2
	; sched_barrier mask(0x00000000)
	v_add_u32_e32 v12, s11, v2
	v_add_u32_e32 v11, s20, v3
	;; [unrolled: 1-line block ×3, first 2 shown]
	s_add_i32 s4, s10, s4
	s_mov_b32 s7, 0x20000
	v_add_u32_e32 v42, s11, v19
	s_lshl_b32 s6, s4, 1
	s_mov_b32 s4, s16
	s_mov_b32 s5, s17
	v_lshlrev_b32_e32 v10, 1, v2
	s_mov_b32 s13, s19
	s_mov_b32 s15, s7
	s_add_i32 s10, s9, s12
	s_lshl_b32 s14, s10, 1
	v_lshlrev_b32_e32 v18, 1, v3
	v_lshlrev_b32_e32 v20, 1, v11
	s_mov_b32 s12, s18
	v_lshlrev_b32_e32 v27, 1, v19
	v_add_u32_e32 v26, s20, v11
	v_lshlrev_b32_e32 v28, 1, v42
	v_lshlrev_b32_e32 v13, 1, v12
	;; [unrolled: 1-line block ×3, first 2 shown]
	v_add_u32_e32 v41, s20, v26
	buffer_load_dwordx4 v[2:5], v10, s[4:7], 0 offen
	buffer_load_dwordx4 v[6:9], v13, s[4:7], 0 offen
	s_nop 0
	buffer_load_dwordx4 v[10:13], v18, s[12:15], 0 offen
	buffer_load_dwordx4 v[14:17], v20, s[12:15], 0 offen
	s_nop 0
	buffer_load_dwordx4 v[18:21], v27, s[4:7], 0 offen
	buffer_load_dwordx4 v[22:25], v28, s[4:7], 0 offen
	v_lshlrev_b32_e32 v44, 1, v41
	buffer_load_dwordx4 v[26:29], v43, s[12:15], 0 offen
	buffer_load_dwordx4 v[30:33], v44, s[12:15], 0 offen
	s_mul_i32 s18, s11, -3
	s_mul_i32 s10, s20, 29
	v_lshlrev_b32_e32 v1, 4, v1
	s_add_i32 s18, s18, 32
	v_lshlrev_b32_e32 v35, 11, v35
	v_lshl_or_b32 v148, v34, 12, v1
	v_lshl_or_b32 v147, v36, 3, v35
	s_mov_b32 s16, 0x5040100
	s_mov_b32 s17, 0x7060302
	v_add_lshl_u32 v153, v38, v37, 1
	v_accvgpr_write_b32 a95, 0
	v_accvgpr_write_b32 a94, 0
	v_add_u32_e32 v1, s10, v41
	v_add_u32_e32 v36, s20, v1
	v_lshlrev_b32_e32 v1, 1, v1
	v_add_u32_e32 v34, s18, v42
	v_lshlrev_b32_e32 v35, 1, v34
	v_add_u32_e32 v34, s11, v34
	v_lshlrev_b32_e32 v41, 1, v34
	v_add_u32_e32 v34, s11, v34
	v_lshlrev_b32_e32 v43, 1, v34
	v_add_u32_e32 v34, s11, v34
	v_lshlrev_b32_e32 v45, 1, v34
	v_accvgpr_write_b32 a93, 0
	v_add_u32_e32 v42, s20, v36
	v_add_u32_e32 v44, s20, v42
	v_lshlrev_b32_e32 v46, 1, v44
	v_accvgpr_write_b32 a92, 0
	v_accvgpr_read_b32 v181, a95
	s_add_i32 s19, s26, -3
	v_lshlrev_b32_e32 v42, 1, v42
	v_add_u32_e32 v149, 0x8000, v153
	v_or_b32_e32 v150, 0x4000, v147
	v_lshlrev_b32_e32 v36, 1, v36
	v_or_b32_e32 v155, 0x8000, v148
	v_or_b32_e32 v156, 0x8000, v147
	;; [unrolled: 1-line block ×3, first 2 shown]
	v_accvgpr_write_b32 a3, 0
	v_accvgpr_write_b32 a2, 0
	;; [unrolled: 1-line block ×17, first 2 shown]
	s_waitcnt vmcnt(7)
	ds_write_b128 v148, v[2:5]
	s_waitcnt vmcnt(6)
	ds_write_b128 v148, v[6:9] offset:16
	s_waitcnt vmcnt(4)
	v_perm_b32 v2, v14, v10, s16
	v_perm_b32 v4, v14, v10, s17
	v_perm_b32 v6, v15, v11, s16
	s_waitcnt vmcnt(0)
	v_perm_b32 v3, v30, v26, s16
	v_perm_b32 v5, v30, v26, s17
	;; [unrolled: 1-line block ×7, first 2 shown]
	ds_write_b128 v148, v[18:21] offset:32
	ds_write_b128 v148, v[22:25] offset:48
	v_perm_b32 v7, v31, v27, s16
	v_perm_b32 v9, v31, v27, s17
	;; [unrolled: 1-line block ×6, first 2 shown]
	ds_write_b128 v147, v[2:5] offset:16384
	ds_write_b128 v147, v[6:9] offset:16400
	;; [unrolled: 1-line block ×4, first 2 shown]
	s_waitcnt lgkmcnt(0)
	s_barrier
	buffer_load_dwordx4 v[98:101], v35, s[4:7], 0 offen
	buffer_load_dwordx4 v[102:105], v41, s[4:7], 0 offen
	;; [unrolled: 1-line block ×8, first 2 shown]
	v_add_lshl_u32 v1, v40, v39, 1
	v_add_u32_e32 v154, 0x4000, v1
	v_add_u32_e32 v2, 0x4800, v1
	;; [unrolled: 1-line block ×6, first 2 shown]
	v_lshlrev_b32_e32 v42, 1, v3
	v_add_u32_e32 v4, s20, v1
	v_add_u32_e32 v3, s11, v3
	v_lshlrev_b32_e32 v44, 1, v3
	v_add_u32_e32 v5, s20, v4
	v_add_u32_e32 v3, s11, v3
	;; [unrolled: 3-line block ×3, first 2 shown]
	v_lshlrev_b32_e32 v50, 1, v4
	v_lshlrev_b32_e32 v45, 1, v3
	;; [unrolled: 1-line block ×5, first 2 shown]
	ds_read2_b64 v[6:9], v154 offset1:32
	ds_read2_b64 v[18:21], v2 offset1:32
	ds_read2_b64 v[14:17], v154 offset0:64 offset1:96
	ds_read2_b64 v[22:25], v2 offset0:64 offset1:96
	;; [unrolled: 1-line block ×6, first 2 shown]
	ds_read_b128 v[82:85], v153
	ds_read_b128 v[78:81], v153 offset:512
	ds_read_b128 v[74:77], v153 offset:1024
	;; [unrolled: 1-line block ×7, first 2 shown]
	buffer_load_dwordx4 v[94:97], v42, s[4:7], 0 offen
	buffer_load_dwordx4 v[90:93], v44, s[4:7], 0 offen
                                        ; kill: killed $vgpr42
                                        ; kill: killed $vgpr44
	buffer_load_dwordx4 v[86:89], v45, s[4:7], 0 offen
	buffer_load_dwordx4 v[70:73], v51, s[4:7], 0 offen
	s_nop 0
	buffer_load_dwordx4 v[42:45], v43, s[12:15], 0 offen
	s_nop 0
	;; [unrolled: 2-line block ×4, first 2 shown]
	buffer_load_dwordx4 v[58:61], v58, s[12:15], 0 offen
	v_accvgpr_write_b32 a30, 0
	v_accvgpr_write_b32 a29, 0
	;; [unrolled: 1-line block ×13, first 2 shown]
	s_waitcnt vmcnt(15)
	ds_write_b128 v148, v[98:101] offset:32768
	s_waitcnt vmcnt(14)
	ds_write_b128 v148, v[102:105] offset:32784
	;; [unrolled: 2-line block ×4, first 2 shown]
	v_accvgpr_write_b32 a25, 0
	s_waitcnt vmcnt(10)
	v_perm_b32 v98, v118, v114, s16
	v_perm_b32 v100, v118, v114, s17
	s_waitcnt vmcnt(8)
	v_perm_b32 v99, v126, v122, s16
	v_perm_b32 v101, v126, v122, s17
	v_accvgpr_write_b32 a24, 0
	v_accvgpr_write_b32 a35, 0
	;; [unrolled: 1-line block ×109, first 2 shown]
	v_accvgpr_read_b32 v180, a94
	v_accvgpr_read_b32 v179, a93
	;; [unrolled: 1-line block ×3, first 2 shown]
	v_accvgpr_write_b32 a207, 0
	v_accvgpr_write_b32 a206, 0
	;; [unrolled: 1-line block ×112, first 2 shown]
	v_add_u32_e32 v158, 0x4000, v152
	v_add_u32_e32 v159, 0x800, v151
	;; [unrolled: 1-line block ×3, first 2 shown]
	v_perm_b32 v102, v119, v115, s16
	v_perm_b32 v104, v119, v115, s17
	;; [unrolled: 1-line block ×12, first 2 shown]
	ds_write_b128 v147, v[98:101] offset:49152
	ds_write_b128 v147, v[102:105] offset:49168
	;; [unrolled: 1-line block ×4, first 2 shown]
.LBB1_10:                               ; =>This Inner Loop Header: Depth=1
	s_nop 7
	v_accvgpr_read_b32 v145, a3
	v_accvgpr_read_b32 v144, a2
	;; [unrolled: 1-line block ×4, first 2 shown]
	s_waitcnt lgkmcnt(14)
	v_mfma_f32_16x16x16f16 a[0:3], v[82:83], v[6:7], a[252:255]
	s_waitcnt lgkmcnt(0)
	s_barrier
	ds_read_b128 v[110:113], v149
	v_add_u32_e32 v114, s18, v138
	v_add_u32_e32 v1, s10, v1
	ds_read_b128 v[162:165], v149 offset:3072
	; sched_group_barrier mask(0x00000008) size(1) SyncID(0)
	; sched_group_barrier mask(0x00000100) size(1) SyncID(0)
	v_mfma_f32_16x16x16f16 a[252:255], v[84:85], v[18:19], a[0:3]
	s_waitcnt vmcnt(7)
	ds_write_b128 v148, v[94:97]
	v_lshlrev_b32_e32 v94, 1, v114
	; sched_group_barrier mask(0x00000008) size(1) SyncID(0)
	; sched_group_barrier mask(0x00000200) size(1) SyncID(0)
	v_mfma_f32_16x16x16f16 a[0:3], v[82:83], v[8:9], a[248:251]
	buffer_load_dwordx4 v[94:97], v94, s[4:7], 0 offen
	; sched_group_barrier mask(0x00000008) size(1) SyncID(0)
	; sched_group_barrier mask(0x00000020) size(1) SyncID(0)
	v_mfma_f32_16x16x16f16 a[248:251], v[84:85], v[20:21], a[0:3]
	v_mfma_f32_16x16x16f16 a[0:3], v[82:83], v[14:15], a[244:247]
	;; [unrolled: 1-line block ×7, first 2 shown]
	; sched_group_barrier mask(0x00000008) size(7) SyncID(0)
	v_mfma_f32_16x16x16f16 a[0:3], v[82:83], v[28:29], a[232:235]
	ds_read2_b64 v[98:101], v158 offset1:32
	; sched_group_barrier mask(0x00000008) size(1) SyncID(0)
	; sched_group_barrier mask(0x00000100) size(1) SyncID(0)
	v_mfma_f32_16x16x16f16 a[232:235], v[84:85], v[32:33], a[0:3]
	s_waitcnt vmcnt(7)
	ds_write_b128 v148, v[90:93] offset:16
	v_lshlrev_b32_e32 v90, 1, v1
	v_add_u32_e32 v1, s25, v1
	; sched_group_barrier mask(0x00000008) size(1) SyncID(0)
	; sched_group_barrier mask(0x00000200) size(1) SyncID(0)
	v_mfma_f32_16x16x16f16 a[0:3], v[82:83], v[34:35], a[228:231]
	buffer_load_dwordx4 v[106:109], v90, s[12:15], 0 offen
	v_add_u32_e32 v90, s24, v114
	; sched_group_barrier mask(0x00000008) size(1) SyncID(0)
	; sched_group_barrier mask(0x00000020) size(1) SyncID(0)
	v_mfma_f32_16x16x16f16 a[228:231], v[84:85], v[2:3], a[0:3]
	v_mfma_f32_16x16x16f16 a[0:3], v[82:83], v[36:37], a[224:227]
	v_lshlrev_b32_e32 v82, 1, v90
	v_accvgpr_read_b32 v83, a205
	v_add_u32_e32 v90, s24, v90
	v_mfma_f32_16x16x16f16 a[224:227], v[84:85], v[4:5], a[0:3]
	v_accvgpr_read_b32 v85, a207
	v_accvgpr_read_b32 v84, a206
	v_mfma_f32_16x16x16f16 a[0:3], v[78:79], v[6:7], a[220:223]
	v_mfma_f32_16x16x16f16 a[220:223], v[80:81], v[18:19], a[0:3]
	;; [unrolled: 1-line block ×4, first 2 shown]
	; sched_group_barrier mask(0x00000008) size(7) SyncID(0)
	v_mfma_f32_16x16x16f16 a[0:3], v[78:79], v[14:15], a[212:215]
	ds_read2_b64 v[102:105], v159 offset1:32
	; sched_group_barrier mask(0x00000008) size(1) SyncID(0)
	; sched_group_barrier mask(0x00000100) size(1) SyncID(0)
	v_mfma_f32_16x16x16f16 a[212:215], v[80:81], v[22:23], a[0:3]
	s_waitcnt vmcnt(7)
	ds_write_b128 v148, v[86:89] offset:32
	; sched_group_barrier mask(0x00000008) size(1) SyncID(0)
	; sched_group_barrier mask(0x00000200) size(1) SyncID(0)
	v_mfma_f32_16x16x16f16 a[0:3], v[78:79], v[16:17], a[208:211]
	buffer_load_dwordx4 v[86:89], v82, s[4:7], 0 offen
	v_accvgpr_read_b32 v82, a204
	; sched_group_barrier mask(0x00000008) size(1) SyncID(0)
	; sched_group_barrier mask(0x00000020) size(1) SyncID(0)
	v_mfma_f32_16x16x16f16 a[208:211], v[80:81], v[24:25], a[0:3]
	s_nop 7
	v_accvgpr_write_b32 a0, v178
	v_accvgpr_write_b32 a1, v179
	;; [unrolled: 1-line block ×4, first 2 shown]
	s_nop 1
	v_mfma_f32_16x16x16f16 a[0:3], v[78:79], v[26:27], a[0:3]
	v_mfma_f32_16x16x16f16 a[0:3], v[80:81], v[30:31], a[0:3]
	s_nop 7
	s_nop 2
	v_accvgpr_read_b32 v169, a3
	v_accvgpr_read_b32 v168, a2
	;; [unrolled: 1-line block ×4, first 2 shown]
	v_accvgpr_write_b32 a0, v82
	v_accvgpr_write_b32 a1, v83
	;; [unrolled: 1-line block ×4, first 2 shown]
	v_accvgpr_read_b32 v82, a200
	v_accvgpr_read_b32 v85, a203
	v_mfma_f32_16x16x16f16 a[0:3], v[78:79], v[28:29], a[0:3]
	v_accvgpr_read_b32 v84, a202
	v_accvgpr_read_b32 v83, a201
	v_mfma_f32_16x16x16f16 a[0:3], v[80:81], v[32:33], a[0:3]
	s_nop 7
	s_nop 2
	v_accvgpr_read_b32 v173, a3
	v_accvgpr_read_b32 v172, a2
	;; [unrolled: 1-line block ×4, first 2 shown]
	v_accvgpr_write_b32 a0, v82
	v_accvgpr_write_b32 a1, v83
	;; [unrolled: 1-line block ×4, first 2 shown]
	s_waitcnt vmcnt(5)
	v_perm_b32 v82, v50, v42, s16
	v_perm_b32 v84, v50, v42, s17
	v_mfma_f32_16x16x16f16 a[0:3], v[78:79], v[34:35], a[0:3]
	s_waitcnt vmcnt(3)
	v_perm_b32 v83, v58, v54, s16
	v_perm_b32 v85, v58, v54, s17
	v_add_u32_e32 v50, s24, v90
	v_lshlrev_b32_e32 v42, 1, v50
	v_mfma_f32_16x16x16f16 a[200:203], v[80:81], v[2:3], a[0:3]
	; sched_group_barrier mask(0x00000008) size(7) SyncID(0)
	v_mfma_f32_16x16x16f16 a[0:3], v[78:79], v[36:37], a[192:195]
	v_accvgpr_read_b32 v78, a196
	ds_read2_b64 v[114:117], v158 offset0:64 offset1:96
	v_accvgpr_read_b32 v79, a197
	; sched_group_barrier mask(0x00000008) size(1) SyncID(0)
	; sched_group_barrier mask(0x00000100) size(1) SyncID(0)
	v_mfma_f32_16x16x16f16 a[192:195], v[80:81], v[4:5], a[0:3]
	v_accvgpr_read_b32 v81, a199
	v_accvgpr_read_b32 v80, a198
	ds_write_b128 v148, v[70:73] offset:48
	v_lshlrev_b32_e32 v70, 1, v90
	; sched_group_barrier mask(0x00000008) size(1) SyncID(0)
	; sched_group_barrier mask(0x00000200) size(1) SyncID(0)
	s_nop 2
	v_accvgpr_write_b32 a0, v78
	v_accvgpr_write_b32 a1, v79
	;; [unrolled: 1-line block ×4, first 2 shown]
	v_accvgpr_read_b32 v78, a188
	v_accvgpr_read_b32 v81, a191
	v_mfma_f32_16x16x16f16 a[0:3], v[74:75], v[6:7], a[0:3]
	buffer_load_dwordx4 v[70:73], v70, s[4:7], 0 offen
	v_accvgpr_read_b32 v80, a190
	v_accvgpr_read_b32 v79, a189
	; sched_group_barrier mask(0x00000008) size(1) SyncID(0)
	; sched_group_barrier mask(0x00000020) size(1) SyncID(0)
	v_mfma_f32_16x16x16f16 a[196:199], v[76:77], v[18:19], a[0:3]
	s_nop 6
	v_accvgpr_write_b32 a0, v78
	v_accvgpr_write_b32 a1, v79
	v_accvgpr_write_b32 a2, v80
	v_accvgpr_write_b32 a3, v81
	v_accvgpr_read_b32 v78, a184
	v_accvgpr_read_b32 v81, a187
	v_mfma_f32_16x16x16f16 a[0:3], v[74:75], v[8:9], a[0:3]
	v_accvgpr_read_b32 v80, a186
	v_accvgpr_read_b32 v79, a185
	v_mfma_f32_16x16x16f16 a[188:191], v[76:77], v[20:21], a[0:3]
	s_nop 7
	v_accvgpr_write_b32 a0, v78
	v_accvgpr_write_b32 a1, v79
	v_accvgpr_write_b32 a2, v80
	v_accvgpr_write_b32 a3, v81
	v_accvgpr_read_b32 v78, a180
	v_accvgpr_read_b32 v81, a183
	v_mfma_f32_16x16x16f16 a[0:3], v[74:75], v[14:15], a[0:3]
	v_accvgpr_read_b32 v80, a182
	v_accvgpr_read_b32 v79, a181
	;; [unrolled: 11-line block ×3, first 2 shown]
	v_mfma_f32_16x16x16f16 a[180:183], v[76:77], v[24:25], a[0:3]
	; sched_group_barrier mask(0x00000008) size(7) SyncID(0)
	s_nop 7
	v_accvgpr_write_b32 a0, v78
	v_accvgpr_write_b32 a1, v79
	;; [unrolled: 1-line block ×4, first 2 shown]
	v_accvgpr_read_b32 v78, a172
	v_accvgpr_read_b32 v81, a175
	v_mfma_f32_16x16x16f16 a[0:3], v[74:75], v[26:27], a[0:3]
	v_accvgpr_read_b32 v80, a174
	v_accvgpr_read_b32 v79, a173
	ds_read2_b64 v[118:121], v159 offset0:64 offset1:96
	; sched_group_barrier mask(0x00000008) size(1) SyncID(0)
	; sched_group_barrier mask(0x00000100) size(1) SyncID(0)
	v_mfma_f32_16x16x16f16 a[176:179], v[76:77], v[30:31], a[0:3]
	ds_write_b128 v147, v[82:85] offset:16384
	; sched_group_barrier mask(0x00000008) size(1) SyncID(0)
	; sched_group_barrier mask(0x00000200) size(1) SyncID(0)
	s_nop 5
	v_accvgpr_write_b32 a0, v78
	v_accvgpr_write_b32 a1, v79
	;; [unrolled: 1-line block ×4, first 2 shown]
	v_accvgpr_read_b32 v78, a168
	v_accvgpr_read_b32 v81, a171
	v_mfma_f32_16x16x16f16 a[0:3], v[74:75], v[28:29], a[0:3]
	buffer_load_dwordx4 v[138:141], v42, s[4:7], 0 offen
	v_accvgpr_read_b32 v80, a170
	v_accvgpr_read_b32 v79, a169
	v_lshlrev_b32_e32 v42, 1, v1
	v_add_u32_e32 v1, s25, v1
	; sched_group_barrier mask(0x00000008) size(1) SyncID(0)
	; sched_group_barrier mask(0x00000020) size(1) SyncID(0)
	v_mfma_f32_16x16x16f16 a[172:175], v[76:77], v[32:33], a[0:3]
	s_nop 6
	v_accvgpr_write_b32 a0, v78
	v_accvgpr_write_b32 a1, v79
	;; [unrolled: 1-line block ×4, first 2 shown]
	v_perm_b32 v78, v51, v43, s16
	v_perm_b32 v80, v51, v43, s17
	v_mfma_f32_16x16x16f16 a[0:3], v[74:75], v[34:35], a[0:3]
	v_perm_b32 v79, v59, v55, s16
	v_perm_b32 v81, v59, v55, s17
	v_perm_b32 v43, v61, v57, s16
	v_mfma_f32_16x16x16f16 a[168:171], v[76:77], v[2:3], a[0:3]
	v_mfma_f32_16x16x16f16 a[0:3], v[74:75], v[36:37], a[160:163]
	v_accvgpr_read_b32 v74, a164
	v_accvgpr_read_b32 v75, a165
	v_mfma_f32_16x16x16f16 a[160:163], v[76:77], v[4:5], a[0:3]
	v_accvgpr_read_b32 v77, a167
	v_accvgpr_read_b32 v76, a166
	s_nop 5
	v_accvgpr_write_b32 a0, v74
	v_accvgpr_write_b32 a1, v75
	;; [unrolled: 1-line block ×4, first 2 shown]
	v_accvgpr_read_b32 v74, a154
	v_accvgpr_read_b32 v77, a157
	v_mfma_f32_16x16x16f16 a[0:3], v[66:67], v[6:7], a[0:3]
	v_accvgpr_read_b32 v76, a156
	v_accvgpr_read_b32 v75, a155
	v_mfma_f32_16x16x16f16 a[164:167], v[68:69], v[18:19], a[0:3]
	; sched_group_barrier mask(0x00000008) size(7) SyncID(0)
	s_nop 7
	v_accvgpr_write_b32 a0, v74
	v_accvgpr_write_b32 a1, v75
	;; [unrolled: 1-line block ×4, first 2 shown]
	v_accvgpr_read_b32 v74, a150
	v_accvgpr_read_b32 v77, a153
	v_mfma_f32_16x16x16f16 a[0:3], v[66:67], v[8:9], a[0:3]
	v_accvgpr_read_b32 v76, a152
	v_accvgpr_read_b32 v75, a151
	ds_read2_b64 v[122:125], v158 offset0:128 offset1:160
	; sched_group_barrier mask(0x00000008) size(1) SyncID(0)
	; sched_group_barrier mask(0x00000100) size(1) SyncID(0)
	v_mfma_f32_16x16x16f16 a[154:157], v[68:69], v[20:21], a[0:3]
	ds_write_b128 v150, v[78:81] offset:16
	v_accvgpr_read_b32 v78, a146
	v_accvgpr_read_b32 v81, a149
	;; [unrolled: 1-line block ×4, first 2 shown]
	; sched_group_barrier mask(0x00000008) size(1) SyncID(0)
	; sched_group_barrier mask(0x00000200) size(1) SyncID(0)
	s_nop 1
	v_accvgpr_write_b32 a0, v74
	v_accvgpr_write_b32 a1, v75
	;; [unrolled: 1-line block ×4, first 2 shown]
	s_nop 1
	v_mfma_f32_16x16x16f16 a[0:3], v[66:67], v[14:15], a[0:3]
	buffer_load_dwordx4 v[74:77], v42, s[12:15], 0 offen
	v_lshlrev_b32_e32 v42, 1, v1
	v_add_u32_e32 v1, s25, v1
	; sched_group_barrier mask(0x00000008) size(1) SyncID(0)
	; sched_group_barrier mask(0x00000020) size(1) SyncID(0)
	v_mfma_f32_16x16x16f16 a[150:153], v[68:69], v[22:23], a[0:3]
	s_nop 6
	v_accvgpr_write_b32 a0, v78
	v_accvgpr_write_b32 a1, v79
	;; [unrolled: 1-line block ×4, first 2 shown]
	v_accvgpr_read_b32 v78, a142
	v_accvgpr_read_b32 v81, a145
	v_mfma_f32_16x16x16f16 a[0:3], v[66:67], v[16:17], a[0:3]
	v_accvgpr_read_b32 v80, a144
	v_accvgpr_read_b32 v79, a143
	v_mfma_f32_16x16x16f16 a[146:149], v[68:69], v[24:25], a[0:3]
	s_nop 7
	v_accvgpr_write_b32 a0, v78
	v_accvgpr_write_b32 a1, v79
	;; [unrolled: 1-line block ×4, first 2 shown]
	v_accvgpr_read_b32 v78, a138
	v_accvgpr_read_b32 v81, a141
	v_mfma_f32_16x16x16f16 a[0:3], v[66:67], v[26:27], a[0:3]
	v_accvgpr_read_b32 v80, a140
	v_accvgpr_read_b32 v79, a139
	v_mfma_f32_16x16x16f16 a[142:145], v[68:69], v[30:31], a[0:3]
	s_nop 7
	v_accvgpr_write_b32 a0, v78
	v_accvgpr_write_b32 a1, v79
	;; [unrolled: 1-line block ×4, first 2 shown]
	v_perm_b32 v78, v52, v44, s16
	v_perm_b32 v80, v52, v44, s17
	v_mfma_f32_16x16x16f16 a[0:3], v[66:67], v[28:29], a[0:3]
	v_perm_b32 v79, v60, v56, s16
	v_perm_b32 v81, v60, v56, s17
	;; [unrolled: 1-line block ×3, first 2 shown]
	v_mfma_f32_16x16x16f16 a[138:141], v[68:69], v[32:33], a[0:3]
	; sched_group_barrier mask(0x00000008) size(7) SyncID(0)
	v_mfma_f32_16x16x16f16 a[0:3], v[66:67], v[34:35], a[128:131]
	ds_read2_b64 v[130:133], v159 offset0:128 offset1:160
	; sched_group_barrier mask(0x00000008) size(1) SyncID(0)
	; sched_group_barrier mask(0x00000100) size(1) SyncID(0)
	v_mfma_f32_16x16x16f16 a[130:133], v[68:69], v[2:3], a[0:3]
	ds_write_b128 v150, v[78:81] offset:32
	; sched_group_barrier mask(0x00000008) size(1) SyncID(0)
	; sched_group_barrier mask(0x00000200) size(1) SyncID(0)
	v_mfma_f32_16x16x16f16 a[0:3], v[66:67], v[36:37], a[120:123]
	v_accvgpr_read_b32 v66, a134
	buffer_load_dwordx4 v[78:81], v42, s[12:15], 0 offen
	v_accvgpr_read_b32 v67, a135
	v_perm_b32 v42, v53, v45, s16
	v_perm_b32 v45, v61, v57, s17
	; sched_group_barrier mask(0x00000008) size(1) SyncID(0)
	; sched_group_barrier mask(0x00000020) size(1) SyncID(0)
	v_mfma_f32_16x16x16f16 a[120:123], v[68:69], v[4:5], a[0:3]
	v_accvgpr_read_b32 v69, a137
	v_accvgpr_read_b32 v68, a136
	s_nop 4
	v_accvgpr_write_b32 a0, v66
	v_accvgpr_write_b32 a1, v67
	;; [unrolled: 1-line block ×4, first 2 shown]
	v_accvgpr_read_b32 v66, a124
	v_accvgpr_read_b32 v69, a127
	v_mfma_f32_16x16x16f16 a[0:3], v[62:63], v[6:7], a[0:3]
	v_accvgpr_read_b32 v68, a126
	v_accvgpr_read_b32 v67, a125
	v_mfma_f32_16x16x16f16 a[134:137], v[64:65], v[18:19], a[0:3]
	s_nop 7
	v_accvgpr_write_b32 a0, v66
	v_accvgpr_write_b32 a1, v67
	;; [unrolled: 1-line block ×4, first 2 shown]
	s_nop 1
	v_mfma_f32_16x16x16f16 a[0:3], v[62:63], v[8:9], a[0:3]
	v_mfma_f32_16x16x16f16 a[124:127], v[64:65], v[20:21], a[0:3]
	;; [unrolled: 1-line block ×4, first 2 shown]
	; sched_group_barrier mask(0x00000008) size(7) SyncID(0)
	v_mfma_f32_16x16x16f16 a[0:3], v[62:63], v[16:17], a[112:115]
	ds_read2_b64 v[134:137], v158 offset0:192 offset1:224
	; sched_group_barrier mask(0x00000008) size(1) SyncID(0)
	; sched_group_barrier mask(0x00000100) size(1) SyncID(0)
	v_mfma_f32_16x16x16f16 a[112:115], v[64:65], v[24:25], a[0:3]
	ds_write_b128 v150, v[42:45] offset:48
	v_lshlrev_b32_e32 v42, 1, v1
	v_add_u32_e32 v1, s10, v1
	; sched_group_barrier mask(0x00000008) size(1) SyncID(0)
	; sched_group_barrier mask(0x00000200) size(1) SyncID(0)
	v_mfma_f32_16x16x16f16 a[0:3], v[62:63], v[26:27], a[108:111]
	buffer_load_dwordx4 v[56:59], v42, s[12:15], 0 offen
	; sched_group_barrier mask(0x00000008) size(1) SyncID(0)
	; sched_group_barrier mask(0x00000020) size(1) SyncID(0)
	v_mfma_f32_16x16x16f16 a[108:111], v[64:65], v[30:31], a[0:3]
	v_mfma_f32_16x16x16f16 a[0:3], v[62:63], v[28:29], a[104:107]
	;; [unrolled: 1-line block ×7, first 2 shown]
	ds_read_b128 v[64:67], v149 offset:2560
	; sched_group_barrier mask(0x00000008) size(7) SyncID(0)
	v_mfma_f32_16x16x16f16 a[0:3], v[46:47], v[6:7], a[92:95]
	ds_read2_b64 v[126:129], v159 offset0:192 offset1:224
	; sched_group_barrier mask(0x00000008) size(1) SyncID(0)
	; sched_group_barrier mask(0x00000100) size(1) SyncID(0)
	v_mfma_f32_16x16x16f16 a[92:95], v[48:49], v[18:19], a[0:3]
	; sched_group_barrier mask(0x00000008) size(1) SyncID(0)
	; sched_group_barrier mask(0x00000200) size(1) SyncID(0)
	v_mfma_f32_16x16x16f16 a[0:3], v[46:47], v[8:9], a[88:91]
	; sched_group_barrier mask(0x00000008) size(1) SyncID(0)
	; sched_group_barrier mask(0x00000020) size(1) SyncID(0)
	v_mfma_f32_16x16x16f16 a[88:91], v[48:49], v[20:21], a[0:3]
	v_mfma_f32_16x16x16f16 a[0:3], v[46:47], v[14:15], a[84:87]
	v_mfma_f32_16x16x16f16 a[84:87], v[48:49], v[22:23], a[0:3]
	v_mfma_f32_16x16x16f16 a[0:3], v[46:47], v[16:17], a[80:83]
	v_mfma_f32_16x16x16f16 a[80:83], v[48:49], v[24:25], a[0:3]
	v_mfma_f32_16x16x16f16 a[0:3], v[46:47], v[26:27], a[76:79]
	v_mfma_f32_16x16x16f16 a[76:79], v[48:49], v[30:31], a[0:3]
	; sched_group_barrier mask(0x00000008) size(7) SyncID(0)
	v_mfma_f32_16x16x16f16 a[0:3], v[46:47], v[28:29], a[72:75]
	ds_read_b128 v[42:45], v149 offset:512
	; sched_group_barrier mask(0x00000008) size(1) SyncID(0)
	; sched_group_barrier mask(0x00000100) size(1) SyncID(0)
	v_mfma_f32_16x16x16f16 a[72:75], v[48:49], v[32:33], a[0:3]
	; sched_group_barrier mask(0x00000008) size(1) SyncID(0)
	; sched_group_barrier mask(0x00000200) size(1) SyncID(0)
	v_mfma_f32_16x16x16f16 a[0:3], v[46:47], v[34:35], a[68:71]
	; sched_group_barrier mask(0x00000008) size(1) SyncID(0)
	; sched_group_barrier mask(0x00000020) size(1) SyncID(0)
	v_mfma_f32_16x16x16f16 a[68:71], v[48:49], v[2:3], a[0:3]
	v_mfma_f32_16x16x16f16 a[0:3], v[46:47], v[36:37], a[64:67]
	v_mfma_f32_16x16x16f16 a[64:67], v[48:49], v[4:5], a[0:3]
	v_mfma_f32_16x16x16f16 a[0:3], v[38:39], v[6:7], a[60:63]
	v_mfma_f32_16x16x16f16 a[60:63], v[40:41], v[18:19], a[0:3]
	v_mfma_f32_16x16x16f16 a[0:3], v[38:39], v[8:9], a[56:59]
	v_mfma_f32_16x16x16f16 a[56:59], v[40:41], v[20:21], a[0:3]
	; sched_group_barrier mask(0x00000008) size(7) SyncID(0)
	v_mfma_f32_16x16x16f16 a[0:3], v[38:39], v[14:15], a[52:55]
	ds_read_b128 v[46:49], v149 offset:1024
	;; [unrolled: 18-line block ×3, first 2 shown]
	; sched_group_barrier mask(0x00000008) size(1) SyncID(0)
	; sched_group_barrier mask(0x00000100) size(1) SyncID(0)
	v_mfma_f32_16x16x16f16 a[32:35], v[40:41], v[4:5], a[0:3]
	ds_read_b128 v[38:41], v149 offset:2048
	; sched_group_barrier mask(0x00000008) size(1) SyncID(0)
	; sched_group_barrier mask(0x00000200) size(1) SyncID(0)
	v_mfma_f32_16x16x16f16 a[0:3], v[10:11], v[6:7], a[24:27]
	v_accvgpr_read_b32 v6, a28
	v_accvgpr_read_b32 v7, a29
	; sched_group_barrier mask(0x00000008) size(1) SyncID(0)
	; sched_group_barrier mask(0x00000020) size(1) SyncID(0)
	v_mfma_f32_16x16x16f16 a[24:27], v[12:13], v[18:19], a[0:3]
	v_mfma_f32_16x16x16f16 a[0:3], v[10:11], v[8:9], a[20:23]
	v_accvgpr_read_b32 v9, a31
	v_accvgpr_read_b32 v8, a30
	v_mfma_f32_16x16x16f16 a[20:23], v[12:13], v[20:21], a[0:3]
	v_mfma_f32_16x16x16f16 a[0:3], v[10:11], v[14:15], a[16:19]
	;; [unrolled: 1-line block ×3, first 2 shown]
	s_nop 7
	s_nop 1
	v_accvgpr_write_b32 a0, v6
	v_accvgpr_write_b32 a1, v7
	;; [unrolled: 1-line block ×4, first 2 shown]
	v_accvgpr_read_b32 v6, a12
	v_accvgpr_read_b32 v9, a15
	v_mfma_f32_16x16x16f16 a[0:3], v[10:11], v[16:17], a[0:3]
	v_accvgpr_read_b32 v8, a14
	v_accvgpr_read_b32 v7, a13
	v_mfma_f32_16x16x16f16 a[28:31], v[12:13], v[24:25], a[0:3]
	; sched_group_barrier mask(0x00000008) size(7) SyncID(0)
	s_nop 7
	v_accvgpr_write_b32 a0, v6
	v_accvgpr_write_b32 a1, v7
	;; [unrolled: 1-line block ×4, first 2 shown]
	v_accvgpr_read_b32 v6, a8
	v_accvgpr_read_b32 v9, a11
	v_mfma_f32_16x16x16f16 a[0:3], v[10:11], v[26:27], a[0:3]
	v_accvgpr_read_b32 v8, a10
	v_accvgpr_read_b32 v7, a9
	v_mfma_f32_16x16x16f16 a[12:15], v[12:13], v[30:31], a[0:3]
	s_nop 7
	v_accvgpr_write_b32 a0, v6
	v_accvgpr_write_b32 a1, v7
	;; [unrolled: 1-line block ×4, first 2 shown]
	v_accvgpr_read_b32 v6, a4
	v_accvgpr_read_b32 v9, a7
	v_mfma_f32_16x16x16f16 a[0:3], v[10:11], v[28:29], a[0:3]
	v_accvgpr_read_b32 v8, a6
	v_accvgpr_read_b32 v7, a5
	v_mfma_f32_16x16x16f16 a[8:11], v[12:13], v[32:33], a[0:3]
	s_nop 7
	v_accvgpr_write_b32 a0, v6
	v_accvgpr_write_b32 a1, v7
	;; [unrolled: 1-line block ×4, first 2 shown]
	v_mov_b32_e32 v6, v142
	v_mov_b32_e32 v9, v145
	v_mfma_f32_16x16x16f16 a[0:3], v[10:11], v[34:35], a[0:3]
	v_mov_b32_e32 v8, v144
	v_mov_b32_e32 v7, v143
	ds_read_b128 v[142:145], v149 offset:3584
	v_mfma_f32_16x16x16f16 a[4:7], v[12:13], v[2:3], a[0:3]
	v_add_u32_e32 v2, s18, v50
	s_nop 5
	v_accvgpr_write_b32 a0, v6
	v_accvgpr_write_b32 a1, v7
	;; [unrolled: 1-line block ×4, first 2 shown]
	s_nop 1
	v_mfma_f32_16x16x16f16 a[0:3], v[10:11], v[36:37], a[0:3]
	v_mfma_f32_16x16x16f16 a[0:3], v[12:13], v[4:5], a[0:3]
	; sched_barrier mask(0x00000000)
	s_waitcnt lgkmcnt(14)
	v_mfma_f32_16x16x16f16 a[252:255], v[110:111], v[98:99], a[252:255]
	v_lshlrev_b32_e32 v3, 1, v2
	s_waitcnt lgkmcnt(0)
	s_barrier
	ds_read_b128 v[82:85], v153
	v_add_u32_e32 v2, s24, v2
	v_accvgpr_write_b32 a207, v169
	v_accvgpr_write_b32 a206, v168
	v_mfma_f32_16x16x16f16 a[252:255], v[112:113], v[102:103], a[252:255]
	s_waitcnt vmcnt(7)
	ds_write_b128 v155, v[94:97]
	v_accvgpr_write_b32 a205, v167
	v_accvgpr_write_b32 a204, v166
	s_waitcnt vmcnt(2)
	v_perm_b32 v4, v74, v106, s17
	s_waitcnt vmcnt(0)
	v_perm_b32 v5, v56, v78, s17
	ds_read_b128 v[10:13], v153 offset:3584
	; sched_group_barrier mask(0x00000008) size(1) SyncID(0)
	; sched_group_barrier mask(0x00000100) size(1) SyncID(0)
	;; [unrolled: 1-line block ×4, first 2 shown]
	v_mfma_f32_16x16x16f16 a[248:251], v[110:111], v[100:101], a[248:251]
	buffer_load_dwordx4 v[94:97], v3, s[4:7], 0 offen
	v_lshlrev_b32_e32 v3, 1, v2
	v_add_u32_e32 v2, s24, v2
	; sched_group_barrier mask(0x00000008) size(1) SyncID(0)
	; sched_group_barrier mask(0x00000020) size(1) SyncID(0)
	v_mfma_f32_16x16x16f16 a[244:247], v[110:111], v[114:115], a[244:247]
	v_mfma_f32_16x16x16f16 a[240:243], v[110:111], v[116:117], a[240:243]
	;; [unrolled: 1-line block ×7, first 2 shown]
	; sched_group_barrier mask(0x00000008) size(7) SyncID(0)
	v_mfma_f32_16x16x16f16 a[232:235], v[110:111], v[124:125], a[232:235]
	ds_read2_b64 v[6:9], v154 offset1:32
	; sched_group_barrier mask(0x00000008) size(1) SyncID(0)
	; sched_group_barrier mask(0x00000100) size(1) SyncID(0)
	v_mfma_f32_16x16x16f16 a[232:235], v[112:113], v[132:133], a[232:235]
	ds_write_b128 v155, v[86:89] offset:16
	; sched_group_barrier mask(0x00000008) size(1) SyncID(0)
	; sched_group_barrier mask(0x00000200) size(1) SyncID(0)
	v_mfma_f32_16x16x16f16 a[228:231], v[110:111], v[134:135], a[228:231]
	buffer_load_dwordx4 v[90:93], v3, s[4:7], 0 offen
	v_lshlrev_b32_e32 v3, 1, v2
	; sched_group_barrier mask(0x00000008) size(1) SyncID(0)
	; sched_group_barrier mask(0x00000020) size(1) SyncID(0)
	v_mfma_f32_16x16x16f16 a[224:227], v[110:111], v[136:137], a[224:227]
	v_mfma_f32_16x16x16f16 a[220:223], v[42:43], v[98:99], a[220:223]
	;; [unrolled: 1-line block ×7, first 2 shown]
	; sched_group_barrier mask(0x00000008) size(7) SyncID(0)
	v_mfma_f32_16x16x16f16 a[212:215], v[42:43], v[114:115], a[212:215]
	ds_read2_b64 v[18:21], v160 offset1:32
	; sched_group_barrier mask(0x00000008) size(1) SyncID(0)
	; sched_group_barrier mask(0x00000100) size(1) SyncID(0)
	v_mfma_f32_16x16x16f16 a[212:215], v[44:45], v[118:119], a[212:215]
	ds_write_b128 v155, v[70:73] offset:32
	; sched_group_barrier mask(0x00000008) size(1) SyncID(0)
	; sched_group_barrier mask(0x00000200) size(1) SyncID(0)
	v_mfma_f32_16x16x16f16 a[208:211], v[42:43], v[116:117], a[208:211]
	buffer_load_dwordx4 v[86:89], v3, s[4:7], 0 offen
	v_perm_b32 v3, v56, v78, s16
	; sched_group_barrier mask(0x00000008) size(1) SyncID(0)
	; sched_group_barrier mask(0x00000020) size(1) SyncID(0)
	v_mfma_f32_16x16x16f16 a[204:207], v[42:43], v[122:123], a[204:207]
	v_mfma_f32_16x16x16f16 a[204:207], v[44:45], v[130:131], a[204:207]
	;; [unrolled: 1-line block ×3, first 2 shown]
	s_nop 7
	s_nop 1
	v_accvgpr_read_b32 v178, a204
	v_accvgpr_read_b32 v179, a205
	v_accvgpr_read_b32 v180, a206
	v_accvgpr_read_b32 v181, a207
	v_accvgpr_write_b32 a207, v173
	v_accvgpr_write_b32 a206, v172
	;; [unrolled: 1-line block ×4, first 2 shown]
	v_mfma_f32_16x16x16f16 a[208:211], v[44:45], v[120:121], a[208:211]
	s_nop 0
	v_mfma_f32_16x16x16f16 a[204:207], v[42:43], v[124:125], a[204:207]
	v_mfma_f32_16x16x16f16 a[204:207], v[44:45], v[132:133], a[204:207]
	;; [unrolled: 1-line block ×3, first 2 shown]
	; sched_group_barrier mask(0x00000008) size(7) SyncID(0)
	v_mfma_f32_16x16x16f16 a[192:195], v[42:43], v[136:137], a[192:195]
	ds_read2_b64 v[14:17], v154 offset0:64 offset1:96
	; sched_group_barrier mask(0x00000008) size(1) SyncID(0)
	; sched_group_barrier mask(0x00000100) size(1) SyncID(0)
	v_mfma_f32_16x16x16f16 a[192:195], v[44:45], v[128:129], a[192:195]
	ds_write_b128 v155, v[138:141] offset:48
	v_add_u32_e32 v138, s24, v2
	v_lshlrev_b32_e32 v2, 1, v138
	; sched_group_barrier mask(0x00000008) size(1) SyncID(0)
	; sched_group_barrier mask(0x00000200) size(1) SyncID(0)
	v_mfma_f32_16x16x16f16 a[196:199], v[46:47], v[98:99], a[196:199]
	buffer_load_dwordx4 v[70:73], v2, s[4:7], 0 offen
	v_perm_b32 v2, v74, v106, s16
	; sched_group_barrier mask(0x00000008) size(1) SyncID(0)
	; sched_group_barrier mask(0x00000020) size(1) SyncID(0)
	v_mfma_f32_16x16x16f16 a[188:191], v[46:47], v[100:101], a[188:191]
	v_mfma_f32_16x16x16f16 a[184:187], v[46:47], v[114:115], a[184:187]
	;; [unrolled: 1-line block ×7, first 2 shown]
	; sched_group_barrier mask(0x00000008) size(7) SyncID(0)
	v_mfma_f32_16x16x16f16 a[176:179], v[46:47], v[122:123], a[176:179]
	ds_read2_b64 v[22:25], v160 offset0:64 offset1:96
	; sched_group_barrier mask(0x00000008) size(1) SyncID(0)
	; sched_group_barrier mask(0x00000100) size(1) SyncID(0)
	v_mfma_f32_16x16x16f16 a[176:179], v[48:49], v[130:131], a[176:179]
	ds_write_b128 v156, v[2:5] offset:16384
	v_lshlrev_b32_e32 v2, 1, v1
	v_perm_b32 v4, v75, v107, s17
	v_perm_b32 v3, v57, v79, s16
	;; [unrolled: 1-line block ×3, first 2 shown]
	v_add_u32_e32 v1, s25, v1
	; sched_group_barrier mask(0x00000008) size(1) SyncID(0)
	; sched_group_barrier mask(0x00000200) size(1) SyncID(0)
	v_mfma_f32_16x16x16f16 a[172:175], v[46:47], v[124:125], a[172:175]
	buffer_load_dwordx4 v[42:45], v2, s[12:15], 0 offen
	v_perm_b32 v2, v75, v107, s16
	; sched_group_barrier mask(0x00000008) size(1) SyncID(0)
	; sched_group_barrier mask(0x00000020) size(1) SyncID(0)
	v_mfma_f32_16x16x16f16 a[168:171], v[46:47], v[134:135], a[168:171]
	v_mfma_f32_16x16x16f16 a[158:161], v[46:47], v[136:137], a[160:163]
	;; [unrolled: 1-line block ×6, first 2 shown]
	ds_read_b128 v[46:49], v153 offset:2560
	v_mfma_f32_16x16x16f16 a[164:167], v[62:63], v[102:103], a[164:167]
	; sched_group_barrier mask(0x00000008) size(7) SyncID(0)
	v_mfma_f32_16x16x16f16 a[154:157], v[60:61], v[100:101], a[154:157]
	ds_read2_b64 v[26:29], v154 offset0:128 offset1:160
	; sched_group_barrier mask(0x00000008) size(1) SyncID(0)
	; sched_group_barrier mask(0x00000100) size(1) SyncID(0)
	v_mfma_f32_16x16x16f16 a[154:157], v[62:63], v[104:105], a[154:157]
	ds_write_b128 v157, v[2:5] offset:16
	v_lshlrev_b32_e32 v2, 1, v1
	v_perm_b32 v4, v76, v108, s17
	v_perm_b32 v3, v58, v80, s16
	;; [unrolled: 1-line block ×3, first 2 shown]
	v_add_u32_e32 v1, s25, v1
	; sched_group_barrier mask(0x00000008) size(1) SyncID(0)
	; sched_group_barrier mask(0x00000200) size(1) SyncID(0)
	v_mfma_f32_16x16x16f16 a[150:153], v[60:61], v[114:115], a[150:153]
	buffer_load_dwordx4 v[50:53], v2, s[12:15], 0 offen
	v_perm_b32 v2, v76, v108, s16
	; sched_group_barrier mask(0x00000008) size(1) SyncID(0)
	; sched_group_barrier mask(0x00000020) size(1) SyncID(0)
	v_mfma_f32_16x16x16f16 a[146:149], v[60:61], v[116:117], a[146:149]
	v_mfma_f32_16x16x16f16 a[142:145], v[60:61], v[122:123], a[142:145]
	;; [unrolled: 1-line block ×7, first 2 shown]
	; sched_group_barrier mask(0x00000008) size(7) SyncID(0)
	v_mfma_f32_16x16x16f16 a[128:131], v[60:61], v[134:135], a[130:133]
	ds_read2_b64 v[30:33], v160 offset0:128 offset1:160
	; sched_group_barrier mask(0x00000008) size(1) SyncID(0)
	; sched_group_barrier mask(0x00000100) size(1) SyncID(0)
	v_mfma_f32_16x16x16f16 a[128:131], v[62:63], v[126:127], a[128:131]
	ds_write_b128 v157, v[2:5] offset:32
	v_lshlrev_b32_e32 v2, 1, v1
	v_perm_b32 v4, v77, v109, s17
	v_perm_b32 v3, v59, v81, s16
	v_perm_b32 v5, v59, v81, s17
	v_add_u32_e32 v1, s25, v1
	; sched_group_barrier mask(0x00000008) size(1) SyncID(0)
	; sched_group_barrier mask(0x00000200) size(1) SyncID(0)
	v_mfma_f32_16x16x16f16 a[120:123], v[60:61], v[136:137], a[120:123]
	buffer_load_dwordx4 v[54:57], v2, s[12:15], 0 offen
	v_perm_b32 v2, v77, v109, s16
	; sched_group_barrier mask(0x00000008) size(1) SyncID(0)
	; sched_group_barrier mask(0x00000020) size(1) SyncID(0)
	v_mfma_f32_16x16x16f16 a[132:135], v[38:39], v[98:99], a[134:137]
	v_mfma_f32_16x16x16f16 a[124:127], v[38:39], v[100:101], a[124:127]
	;; [unrolled: 1-line block ×7, first 2 shown]
	; sched_group_barrier mask(0x00000008) size(7) SyncID(0)
	v_mfma_f32_16x16x16f16 a[112:115], v[38:39], v[116:117], a[112:115]
	ds_read2_b64 v[34:37], v154 offset0:192 offset1:224
	; sched_group_barrier mask(0x00000008) size(1) SyncID(0)
	; sched_group_barrier mask(0x00000100) size(1) SyncID(0)
	v_mfma_f32_16x16x16f16 a[112:115], v[40:41], v[120:121], a[112:115]
	ds_write_b128 v157, v[2:5] offset:48
	v_lshlrev_b32_e32 v2, 1, v1
	; sched_group_barrier mask(0x00000008) size(1) SyncID(0)
	; sched_group_barrier mask(0x00000200) size(1) SyncID(0)
	v_mfma_f32_16x16x16f16 a[108:111], v[38:39], v[122:123], a[108:111]
	buffer_load_dwordx4 v[58:61], v2, s[12:15], 0 offen
	; sched_group_barrier mask(0x00000008) size(1) SyncID(0)
	; sched_group_barrier mask(0x00000020) size(1) SyncID(0)
	v_mfma_f32_16x16x16f16 a[104:107], v[38:39], v[124:125], a[104:107]
	v_mfma_f32_16x16x16f16 a[100:103], v[38:39], v[134:135], a[100:103]
	;; [unrolled: 1-line block ×7, first 2 shown]
	ds_read_b128 v[38:41], v153 offset:3072
	; sched_group_barrier mask(0x00000008) size(7) SyncID(0)
	v_mfma_f32_16x16x16f16 a[92:95], v[64:65], v[98:99], a[92:95]
	ds_read2_b64 v[2:5], v160 offset0:192 offset1:224
	; sched_group_barrier mask(0x00000008) size(1) SyncID(0)
	; sched_group_barrier mask(0x00000100) size(1) SyncID(0)
	v_mfma_f32_16x16x16f16 a[92:95], v[66:67], v[102:103], a[92:95]
	; sched_group_barrier mask(0x00000008) size(1) SyncID(0)
	; sched_group_barrier mask(0x00000200) size(1) SyncID(0)
	v_mfma_f32_16x16x16f16 a[88:91], v[64:65], v[100:101], a[88:91]
	; sched_group_barrier mask(0x00000008) size(1) SyncID(0)
	; sched_group_barrier mask(0x00000020) size(1) SyncID(0)
	v_mfma_f32_16x16x16f16 a[84:87], v[64:65], v[114:115], a[84:87]
	v_mfma_f32_16x16x16f16 a[80:83], v[64:65], v[116:117], a[80:83]
	v_mfma_f32_16x16x16f16 a[76:79], v[64:65], v[122:123], a[76:79]
	;; [unrolled: 1-line block ×6, first 2 shown]
	; sched_group_barrier mask(0x00000008) size(7) SyncID(0)
	v_mfma_f32_16x16x16f16 a[72:75], v[64:65], v[124:125], a[72:75]
	ds_read_b128 v[78:81], v153 offset:512
	; sched_group_barrier mask(0x00000008) size(1) SyncID(0)
	; sched_group_barrier mask(0x00000100) size(1) SyncID(0)
	v_mfma_f32_16x16x16f16 a[72:75], v[66:67], v[132:133], a[72:75]
	; sched_group_barrier mask(0x00000008) size(1) SyncID(0)
	; sched_group_barrier mask(0x00000200) size(1) SyncID(0)
	v_mfma_f32_16x16x16f16 a[68:71], v[64:65], v[134:135], a[68:71]
	;; [unrolled: 3-line block ×3, first 2 shown]
	ds_read_b128 v[62:65], v153 offset:2048
	v_mfma_f32_16x16x16f16 a[60:63], v[162:163], v[98:99], a[60:63]
	v_mfma_f32_16x16x16f16 a[56:59], v[162:163], v[100:101], a[56:59]
	;; [unrolled: 1-line block ×6, first 2 shown]
	; sched_group_barrier mask(0x00000008) size(7) SyncID(0)
	v_mfma_f32_16x16x16f16 a[52:55], v[162:163], v[114:115], a[52:55]
	ds_read_b128 v[74:77], v153 offset:1024
	; sched_group_barrier mask(0x00000008) size(1) SyncID(0)
	; sched_group_barrier mask(0x00000100) size(1) SyncID(0)
	v_mfma_f32_16x16x16f16 a[52:55], v[164:165], v[118:119], a[52:55]
	; sched_group_barrier mask(0x00000008) size(1) SyncID(0)
	; sched_group_barrier mask(0x00000200) size(1) SyncID(0)
	v_mfma_f32_16x16x16f16 a[48:51], v[162:163], v[116:117], a[48:51]
	;; [unrolled: 3-line block ×3, first 2 shown]
	v_mfma_f32_16x16x16f16 a[40:43], v[162:163], v[124:125], a[40:43]
	v_mfma_f32_16x16x16f16 a[36:39], v[162:163], v[134:135], a[36:39]
	;; [unrolled: 1-line block ×6, first 2 shown]
	; sched_group_barrier mask(0x00000008) size(7) SyncID(0)
	v_mfma_f32_16x16x16f16 a[32:35], v[162:163], v[136:137], a[32:35]
	ds_read_b128 v[66:69], v153 offset:1536
	; sched_group_barrier mask(0x00000008) size(1) SyncID(0)
	; sched_group_barrier mask(0x00000100) size(1) SyncID(0)
	v_mfma_f32_16x16x16f16 a[32:35], v[164:165], v[128:129], a[32:35]
	; sched_group_barrier mask(0x00000008) size(1) SyncID(0)
	; sched_group_barrier mask(0x00000200) size(1) SyncID(0)
	v_mfma_f32_16x16x16f16 a[24:27], v[142:143], v[98:99], a[24:27]
	;; [unrolled: 3-line block ×3, first 2 shown]
	v_mfma_f32_16x16x16f16 a[16:19], v[142:143], v[114:115], a[16:19]
	v_mfma_f32_16x16x16f16 a[28:31], v[142:143], v[116:117], a[28:31]
	;; [unrolled: 1-line block ×10, first 2 shown]
	; sched_group_barrier mask(0x00000008) size(7) SyncID(0)
	v_mfma_f32_16x16x16f16 a[12:15], v[144:145], v[130:131], a[12:15]
	v_mfma_f32_16x16x16f16 a[8:11], v[144:145], v[132:133], a[8:11]
	;; [unrolled: 1-line block ×4, first 2 shown]
	; sched_barrier mask(0x00000000)
	s_add_i32 s23, s23, 2
	s_cmp_lt_i32 s23, s19
	s_cbranch_scc1 .LBB1_10
; %bb.11:
	s_nop 7
	v_accvgpr_read_b32 v119, a3
	v_accvgpr_read_b32 v118, a2
	;; [unrolled: 1-line block ×4, first 2 shown]
	s_waitcnt lgkmcnt(14)
	v_mfma_f32_16x16x16f16 a[0:3], v[82:83], v[6:7], a[252:255]
	v_accvgpr_read_b32 v115, a31
	v_accvgpr_read_b32 v111, a15
	;; [unrolled: 1-line block ×16, first 2 shown]
	s_waitcnt lgkmcnt(0)
	s_barrier
	s_waitcnt vmcnt(7)
	ds_write_b128 v148, v[94:97]
	v_mfma_f32_16x16x16f16 a[0:3], v[84:85], v[18:19], a[0:3]
	ds_read_b128 v[94:97], v149
	v_accvgpr_read_b32 v120, a124
	v_accvgpr_read_b32 v121, a125
	;; [unrolled: 1-line block ×6, first 2 shown]
	v_mfma_f32_16x16x16f16 a[4:7], v[82:83], v[8:9], a[248:251]
	v_accvgpr_read_b32 v128, a138
	v_accvgpr_read_b32 v124, a134
	v_add_u32_e32 v1, 0x4000, v152
	v_accvgpr_read_b32 v137, a147
	v_accvgpr_read_b32 v138, a148
	;; [unrolled: 1-line block ×4, first 2 shown]
	v_mfma_f32_16x16x16f16 a[8:11], v[82:83], v[14:15], a[244:247]
	v_accvgpr_read_b32 v134, a144
	v_accvgpr_read_b32 v135, a145
	;; [unrolled: 1-line block ×7, first 2 shown]
	v_mfma_f32_16x16x16f16 a[12:15], v[82:83], v[16:17], a[240:243]
	v_accvgpr_read_b32 v127, a137
	v_accvgpr_read_b32 v140, a150
	;; [unrolled: 1-line block ×7, first 2 shown]
	v_mfma_f32_16x16x16f16 a[28:31], v[82:83], v[26:27], a[236:239]
	v_accvgpr_read_b32 v156, a156
	v_accvgpr_read_b32 v157, a157
	v_accvgpr_write_b32 a156, v178
	v_accvgpr_read_b32 v162, a168
	v_accvgpr_read_b32 v158, a164
	v_add_u32_e32 v98, 0x800, v151
	v_accvgpr_write_b32 a157, v179
	v_mfma_f32_16x16x16f16 a[4:7], v[84:85], v[20:21], a[4:7]
	v_accvgpr_write_b32 a158, v180
	v_accvgpr_write_b32 a159, v181
	v_accvgpr_read_b32 v163, a169
	v_accvgpr_read_b32 v164, a170
	v_accvgpr_read_b32 v165, a171
	v_accvgpr_read_b32 v159, a165
	v_accvgpr_read_b32 v160, a166
	v_mfma_f32_16x16x16f16 a[8:11], v[84:85], v[22:23], a[8:11]
	v_accvgpr_read_b32 v161, a167
	v_accvgpr_read_b32 v166, a172
	;; [unrolled: 1-line block ×7, first 2 shown]
	v_mfma_f32_16x16x16f16 a[12:15], v[84:85], v[24:25], a[12:15]
	v_accvgpr_read_b32 v170, a176
	v_accvgpr_read_b32 v175, a181
	;; [unrolled: 1-line block ×6, first 2 shown]
	s_mov_b32 s4, 0x5040100
	v_mfma_f32_16x16x16f16 a[28:31], v[84:85], v[30:31], a[28:31]
	s_mov_b32 s5, 0x7060302
	s_mul_i32 s8, s8, s21
	; sched_group_barrier mask(0x00000008) size(1) SyncID(0)
	; sched_group_barrier mask(0x00000200) size(1) SyncID(0)
	;; [unrolled: 1-line block ×7, first 2 shown]
	v_mfma_f32_16x16x16f16 a[124:127], v[82:83], v[28:29], a[232:235]
	s_waitcnt vmcnt(6)
	ds_write_b128 v148, v[90:93] offset:16
	; sched_group_barrier mask(0x00000008) size(1) SyncID(0)
	; sched_group_barrier mask(0x00000200) size(1) SyncID(0)
	v_mfma_f32_16x16x16f16 a[124:127], v[84:85], v[32:33], a[124:127]
	ds_read2_b64 v[90:93], v1 offset1:32
	; sched_group_barrier mask(0x00000008) size(1) SyncID(0)
	; sched_group_barrier mask(0x00000100) size(1) SyncID(0)
	v_mfma_f32_16x16x16f16 a[132:135], v[82:83], v[34:35], a[228:231]
	; sched_group_barrier mask(0x00000008) size(1) SyncID(0)
	; sched_group_barrier mask(0x00000100) size(0) SyncID(0)
	v_mfma_f32_16x16x16f16 a[136:139], v[82:83], v[36:37], a[224:227]
	v_mfma_f32_16x16x16f16 a[140:143], v[78:79], v[6:7], a[220:223]
	;; [unrolled: 1-line block ×7, first 2 shown]
	; sched_group_barrier mask(0x00000008) size(7) SyncID(0)
	v_mfma_f32_16x16x16f16 a[148:151], v[78:79], v[14:15], a[212:215]
	s_waitcnt vmcnt(5)
	ds_write_b128 v148, v[86:89] offset:32
	s_waitcnt vmcnt(2)
	v_perm_b32 v86, v52, v44, s4
	v_perm_b32 v88, v52, v44, s5
	s_waitcnt vmcnt(0)
	v_perm_b32 v87, v60, v56, s4
	v_perm_b32 v89, v60, v56, s5
	;; [unrolled: 1-line block ×3, first 2 shown]
	; sched_group_barrier mask(0x00000008) size(1) SyncID(0)
	; sched_group_barrier mask(0x00000200) size(1) SyncID(0)
	v_mfma_f32_16x16x16f16 a[148:151], v[80:81], v[22:23], a[148:151]
	ds_read2_b64 v[82:85], v98 offset1:32
	; sched_group_barrier mask(0x00000008) size(1) SyncID(0)
	; sched_group_barrier mask(0x00000100) size(1) SyncID(0)
	v_mfma_f32_16x16x16f16 a[152:155], v[78:79], v[16:17], a[208:211]
	; sched_group_barrier mask(0x00000008) size(1) SyncID(0)
	; sched_group_barrier mask(0x00000100) size(0) SyncID(0)
	v_mfma_f32_16x16x16f16 a[156:159], v[78:79], v[26:27], a[156:159]
	v_mfma_f32_16x16x16f16 a[164:167], v[78:79], v[28:29], a[204:207]
	;; [unrolled: 1-line block ×7, first 2 shown]
	; sched_group_barrier mask(0x00000008) size(7) SyncID(0)
	v_mfma_f32_16x16x16f16 a[172:175], v[78:79], v[36:37], a[192:195]
	ds_write_b128 v148, v[70:73] offset:48
	v_perm_b32 v78, v50, v42, s4
	v_perm_b32 v79, v58, v54, s4
	; sched_group_barrier mask(0x00000008) size(1) SyncID(0)
	; sched_group_barrier mask(0x00000200) size(1) SyncID(0)
	v_mfma_f32_16x16x16f16 a[172:175], v[80:81], v[4:5], a[172:175]
	ds_read2_b64 v[70:73], v1 offset0:64 offset1:96
	v_perm_b32 v80, v50, v42, s5
	v_perm_b32 v81, v58, v54, s5
	;; [unrolled: 1-line block ×4, first 2 shown]
	; sched_group_barrier mask(0x00000008) size(1) SyncID(0)
	; sched_group_barrier mask(0x00000100) size(1) SyncID(0)
	v_mfma_f32_16x16x16f16 a[176:179], v[74:75], v[6:7], a[196:199]
	; sched_group_barrier mask(0x00000008) size(1) SyncID(0)
	; sched_group_barrier mask(0x00000100) size(0) SyncID(0)
	v_mfma_f32_16x16x16f16 a[180:183], v[74:75], v[8:9], a[188:191]
	s_nop 6
	v_accvgpr_write_b32 a191, v177
	v_accvgpr_write_b32 a190, v176
	;; [unrolled: 1-line block ×4, first 2 shown]
	v_mfma_f32_16x16x16f16 a[184:187], v[74:75], v[14:15], a[184:187]
	s_nop 0
	v_mfma_f32_16x16x16f16 a[188:191], v[74:75], v[16:17], a[188:191]
	v_mfma_f32_16x16x16f16 a[188:191], v[76:77], v[24:25], a[188:191]
	;; [unrolled: 1-line block ×3, first 2 shown]
	s_nop 7
	s_nop 1
	v_accvgpr_read_b32 v174, a188
	v_accvgpr_read_b32 v175, a189
	;; [unrolled: 1-line block ×4, first 2 shown]
	v_accvgpr_write_b32 a191, v173
	v_accvgpr_write_b32 a190, v172
	;; [unrolled: 1-line block ×4, first 2 shown]
	v_mfma_f32_16x16x16f16 a[180:183], v[76:77], v[20:21], a[180:183]
	v_mfma_f32_16x16x16f16 a[184:187], v[76:77], v[22:23], a[184:187]
	; sched_group_barrier mask(0x00000008) size(7) SyncID(0)
	v_mfma_f32_16x16x16f16 a[192:195], v[74:75], v[26:27], a[188:191]
	ds_write_b128 v147, v[78:81] offset:16384
	; sched_group_barrier mask(0x00000008) size(1) SyncID(0)
	; sched_group_barrier mask(0x00000200) size(1) SyncID(0)
	v_mfma_f32_16x16x16f16 a[188:191], v[76:77], v[30:31], a[192:195]
	ds_read2_b64 v[78:81], v98 offset0:64 offset1:96
	; sched_group_barrier mask(0x00000008) size(1) SyncID(0)
	; sched_group_barrier mask(0x00000100) size(1) SyncID(0)
	s_nop 7
	s_nop 1
	v_accvgpr_read_b32 v170, a188
	v_accvgpr_read_b32 v171, a189
	;; [unrolled: 1-line block ×4, first 2 shown]
	v_accvgpr_write_b32 a191, v169
	v_accvgpr_write_b32 a190, v168
	v_accvgpr_write_b32 a189, v167
	v_accvgpr_write_b32 a188, v166
	s_nop 1
	v_mfma_f32_16x16x16f16 a[196:199], v[74:75], v[28:29], a[188:191]
	; sched_group_barrier mask(0x00000008) size(1) SyncID(0)
	; sched_group_barrier mask(0x00000100) size(0) SyncID(0)
	v_mfma_f32_16x16x16f16 a[160:163], v[74:75], v[36:37], a[160:163]
	v_mfma_f32_16x16x16f16 a[160:163], v[76:77], v[4:5], a[160:163]
	;; [unrolled: 1-line block ×3, first 2 shown]
	s_nop 7
	s_nop 1
	v_accvgpr_read_b32 v181, a163
	v_accvgpr_read_b32 v180, a162
	;; [unrolled: 1-line block ×4, first 2 shown]
	v_accvgpr_write_b32 a163, v161
	v_accvgpr_write_b32 a162, v160
	;; [unrolled: 1-line block ×4, first 2 shown]
	v_accvgpr_read_b32 v166, a188
	v_accvgpr_read_b32 v167, a189
	v_mfma_f32_16x16x16f16 a[204:207], v[66:67], v[6:7], a[160:163]
	v_accvgpr_read_b32 v168, a190
	v_accvgpr_read_b32 v169, a191
	v_accvgpr_write_b32 a191, v165
	v_accvgpr_write_b32 a190, v164
	;; [unrolled: 1-line block ×4, first 2 shown]
	v_mfma_f32_16x16x16f16 a[160:163], v[68:69], v[18:19], a[204:207]
	s_nop 0
	v_mfma_f32_16x16x16f16 a[200:203], v[74:75], v[34:35], a[188:191]
	v_perm_b32 v74, v51, v43, s4
	v_perm_b32 v75, v59, v55, s4
	s_nop 6
	v_accvgpr_read_b32 v158, a160
	v_accvgpr_read_b32 v159, a161
	;; [unrolled: 1-line block ×4, first 2 shown]
	v_accvgpr_write_b32 a163, v157
	v_accvgpr_write_b32 a162, v156
	;; [unrolled: 1-line block ×4, first 2 shown]
	v_mfma_f32_16x16x16f16 a[188:191], v[76:77], v[2:3], a[200:203]
	v_perm_b32 v76, v51, v43, s5
	v_perm_b32 v77, v59, v55, s5
	;; [unrolled: 1-line block ×3, first 2 shown]
	s_mul_hi_u32 s4, s22, s21
	s_add_i32 s4, s4, s8
	; sched_group_barrier mask(0x00000008) size(7) SyncID(0)
	v_mfma_f32_16x16x16f16 a[208:211], v[66:67], v[8:9], a[160:163]
	ds_write_b128 v150, v[74:77] offset:16
	; sched_group_barrier mask(0x00000008) size(1) SyncID(0)
	; sched_group_barrier mask(0x00000200) size(1) SyncID(0)
	s_nop 3
	v_accvgpr_read_b32 v162, a188
	v_accvgpr_read_b32 v163, a189
	v_mfma_f32_16x16x16f16 a[160:163], v[68:69], v[20:21], a[208:211]
	ds_read2_b64 v[74:77], v1 offset0:128 offset1:160
	v_accvgpr_read_b32 v164, a190
	v_accvgpr_read_b32 v165, a191
	; sched_group_barrier mask(0x00000008) size(1) SyncID(0)
	; sched_group_barrier mask(0x00000100) size(1) SyncID(0)
	s_nop 7
	v_accvgpr_read_b32 v152, a160
	v_accvgpr_read_b32 v153, a161
	v_accvgpr_read_b32 v154, a162
	v_accvgpr_read_b32 v155, a163
	v_accvgpr_write_b32 a163, v143
	v_accvgpr_write_b32 a162, v142
	;; [unrolled: 1-line block ×4, first 2 shown]
	s_nop 1
	v_mfma_f32_16x16x16f16 a[212:215], v[66:67], v[14:15], a[160:163]
	; sched_group_barrier mask(0x00000008) size(1) SyncID(0)
	; sched_group_barrier mask(0x00000100) size(0) SyncID(0)
	v_mfma_f32_16x16x16f16 a[160:163], v[68:69], v[22:23], a[212:215]
	s_nop 7
	s_nop 2
	v_accvgpr_read_b32 v140, a160
	v_accvgpr_read_b32 v141, a161
	v_accvgpr_read_b32 v142, a162
	v_accvgpr_read_b32 v143, a163
	v_accvgpr_write_b32 a163, v139
	v_accvgpr_write_b32 a162, v138
	v_accvgpr_write_b32 a161, v137
	v_accvgpr_write_b32 a160, v136
	s_nop 1
	v_mfma_f32_16x16x16f16 a[216:219], v[66:67], v[16:17], a[160:163]
	v_mfma_f32_16x16x16f16 a[160:163], v[68:69], v[24:25], a[216:219]
	s_nop 7
	s_nop 2
	v_accvgpr_read_b32 v136, a160
	v_accvgpr_read_b32 v137, a161
	v_accvgpr_read_b32 v138, a162
	v_accvgpr_read_b32 v139, a163
	v_accvgpr_write_b32 a163, v135
	v_accvgpr_write_b32 a162, v134
	v_accvgpr_write_b32 a161, v133
	v_accvgpr_write_b32 a160, v132
	s_nop 1
	v_mfma_f32_16x16x16f16 a[220:223], v[66:67], v[26:27], a[160:163]
	;; [unrolled: 13-line block ×3, first 2 shown]
	v_mfma_f32_16x16x16f16 a[160:163], v[68:69], v[32:33], a[224:227]
	; sched_group_barrier mask(0x00000008) size(7) SyncID(0)
	v_mfma_f32_16x16x16f16 a[128:131], v[66:67], v[34:35], a[128:131]
	ds_write_b128 v150, v[86:89] offset:32
	; sched_group_barrier mask(0x00000008) size(1) SyncID(0)
	; sched_group_barrier mask(0x00000200) size(1) SyncID(0)
	s_nop 7
	s_nop 0
	v_accvgpr_read_b32 v128, a160
	v_accvgpr_read_b32 v129, a161
	v_mfma_f32_16x16x16f16 a[128:131], v[68:69], v[2:3], a[128:131]
	ds_read2_b64 v[86:89], v98 offset0:128 offset1:160
	v_accvgpr_read_b32 v130, a162
	v_accvgpr_read_b32 v131, a163
	; sched_group_barrier mask(0x00000008) size(1) SyncID(0)
	; sched_group_barrier mask(0x00000100) size(1) SyncID(0)
	v_mfma_f32_16x16x16f16 a[120:123], v[66:67], v[36:37], a[120:123]
	; sched_group_barrier mask(0x00000008) size(1) SyncID(0)
	; sched_group_barrier mask(0x00000100) size(0) SyncID(0)
	v_mfma_f32_16x16x16f16 a[120:123], v[68:69], v[4:5], a[120:123]
	v_mfma_f32_16x16x16f16 a[116:119], v[62:63], v[14:15], a[116:119]
	s_nop 7
	s_nop 1
	v_accvgpr_read_b32 v66, a120
	v_accvgpr_read_b32 v67, a121
	;; [unrolled: 1-line block ×4, first 2 shown]
	v_accvgpr_write_b32 a120, v124
	v_accvgpr_write_b32 a121, v125
	;; [unrolled: 1-line block ×4, first 2 shown]
	v_mfma_f32_16x16x16f16 a[116:119], v[64:65], v[22:23], a[116:119]
	s_nop 0
	v_mfma_f32_16x16x16f16 a[228:231], v[62:63], v[6:7], a[120:123]
	v_mfma_f32_16x16x16f16 a[120:123], v[64:65], v[18:19], a[228:231]
	s_nop 7
	s_nop 2
	v_accvgpr_read_b32 v127, a123
	v_accvgpr_read_b32 v126, a122
	v_accvgpr_read_b32 v125, a121
	v_accvgpr_read_b32 v124, a120
	v_accvgpr_write_b32 a120, v120
	v_accvgpr_write_b32 a121, v121
	;; [unrolled: 1-line block ×4, first 2 shown]
	s_nop 1
	v_mfma_f32_16x16x16f16 a[232:235], v[62:63], v[8:9], a[120:123]
	v_mfma_f32_16x16x16f16 a[120:123], v[64:65], v[20:21], a[232:235]
	; sched_group_barrier mask(0x00000008) size(7) SyncID(0)
	v_mfma_f32_16x16x16f16 a[112:115], v[62:63], v[16:17], a[112:115]
	ds_write_b128 v150, v[42:45] offset:48
	; sched_group_barrier mask(0x00000008) size(1) SyncID(0)
	; sched_group_barrier mask(0x00000200) size(1) SyncID(0)
	v_mfma_f32_16x16x16f16 a[112:115], v[64:65], v[24:25], a[112:115]
	ds_read2_b64 v[42:45], v1 offset0:192 offset1:224
	; sched_group_barrier mask(0x00000008) size(1) SyncID(0)
	; sched_group_barrier mask(0x00000100) size(1) SyncID(0)
	v_mfma_f32_16x16x16f16 a[108:111], v[62:63], v[26:27], a[108:111]
	; sched_group_barrier mask(0x00000008) size(1) SyncID(0)
	; sched_group_barrier mask(0x00000100) size(0) SyncID(0)
	v_mfma_f32_16x16x16f16 a[104:107], v[62:63], v[28:29], a[104:107]
	v_mfma_f32_16x16x16f16 a[100:103], v[62:63], v[34:35], a[100:103]
	;; [unrolled: 1-line block ×7, first 2 shown]
	; sched_group_barrier mask(0x00000008) size(7) SyncID(0)
	v_mfma_f32_16x16x16f16 a[92:95], v[46:47], v[6:7], a[92:95]
	; sched_group_barrier mask(0x00000008) size(1) SyncID(0)
	; sched_group_barrier mask(0x00000200) size(1) SyncID(0)
	v_mfma_f32_16x16x16f16 a[92:95], v[48:49], v[18:19], a[92:95]
	ds_read2_b64 v[50:53], v98 offset0:192 offset1:224
	; sched_group_barrier mask(0x00000008) size(1) SyncID(0)
	; sched_group_barrier mask(0x00000100) size(1) SyncID(0)
	v_mfma_f32_16x16x16f16 a[88:91], v[46:47], v[8:9], a[88:91]
	; sched_group_barrier mask(0x00000008) size(1) SyncID(0)
	; sched_group_barrier mask(0x00000100) size(0) SyncID(0)
	v_mfma_f32_16x16x16f16 a[84:87], v[46:47], v[14:15], a[84:87]
	v_mfma_f32_16x16x16f16 a[80:83], v[46:47], v[16:17], a[80:83]
	v_mfma_f32_16x16x16f16 a[76:79], v[46:47], v[26:27], a[76:79]
	v_mfma_f32_16x16x16f16 a[224:227], v[48:49], v[20:21], a[88:91]
	v_mfma_f32_16x16x16f16 a[220:223], v[48:49], v[22:23], a[84:87]
	v_mfma_f32_16x16x16f16 a[80:83], v[48:49], v[24:25], a[80:83]
	v_mfma_f32_16x16x16f16 a[76:79], v[48:49], v[30:31], a[76:79]
	; sched_group_barrier mask(0x00000008) size(7) SyncID(0)
	v_mfma_f32_16x16x16f16 a[72:75], v[46:47], v[28:29], a[72:75]
	; sched_group_barrier mask(0x00000008) size(1) SyncID(0)
	; sched_group_barrier mask(0x00000200) size(1) SyncID(0)
	v_mfma_f32_16x16x16f16 a[72:75], v[48:49], v[32:33], a[72:75]
	ds_read_b128 v[54:57], v149 offset:512
	; sched_group_barrier mask(0x00000008) size(1) SyncID(0)
	; sched_group_barrier mask(0x00000100) size(1) SyncID(0)
	v_mfma_f32_16x16x16f16 a[68:71], v[46:47], v[34:35], a[68:71]
	; sched_group_barrier mask(0x00000008) size(1) SyncID(0)
	; sched_group_barrier mask(0x00000100) size(0) SyncID(0)
	v_mfma_f32_16x16x16f16 a[64:67], v[46:47], v[36:37], a[64:67]
	v_mfma_f32_16x16x16f16 a[60:63], v[38:39], v[6:7], a[60:63]
	v_mfma_f32_16x16x16f16 a[56:59], v[38:39], v[8:9], a[56:59]
	v_mfma_f32_16x16x16f16 a[68:71], v[48:49], v[2:3], a[68:71]
	v_mfma_f32_16x16x16f16 a[64:67], v[48:49], v[4:5], a[64:67]
	v_mfma_f32_16x16x16f16 a[60:63], v[40:41], v[18:19], a[60:63]
	v_mfma_f32_16x16x16f16 a[56:59], v[40:41], v[20:21], a[56:59]
	; sched_group_barrier mask(0x00000008) size(7) SyncID(0)
	v_mfma_f32_16x16x16f16 a[52:55], v[38:39], v[14:15], a[52:55]
	; sched_group_barrier mask(0x00000008) size(1) SyncID(0)
	; sched_group_barrier mask(0x00000200) size(1) SyncID(0)
	v_mfma_f32_16x16x16f16 a[52:55], v[40:41], v[22:23], a[52:55]
	ds_read_b128 v[46:49], v149 offset:1024
	; sched_group_barrier mask(0x00000008) size(1) SyncID(0)
	; sched_group_barrier mask(0x00000100) size(1) SyncID(0)
	v_mfma_f32_16x16x16f16 a[48:51], v[38:39], v[16:17], a[48:51]
	; sched_group_barrier mask(0x00000008) size(1) SyncID(0)
	; sched_group_barrier mask(0x00000100) size(0) SyncID(0)
	v_mfma_f32_16x16x16f16 a[44:47], v[38:39], v[26:27], a[44:47]
	v_mfma_f32_16x16x16f16 a[40:43], v[38:39], v[28:29], a[40:43]
	v_mfma_f32_16x16x16f16 a[36:39], v[38:39], v[34:35], a[36:39]
	v_mfma_f32_16x16x16f16 a[48:51], v[40:41], v[24:25], a[48:51]
	v_mfma_f32_16x16x16f16 a[44:47], v[40:41], v[30:31], a[44:47]
	v_mfma_f32_16x16x16f16 a[40:43], v[40:41], v[32:33], a[40:43]
	v_mfma_f32_16x16x16f16 a[36:39], v[40:41], v[2:3], a[36:39]
	; sched_group_barrier mask(0x00000008) size(7) SyncID(0)
	v_mfma_f32_16x16x16f16 a[32:35], v[38:39], v[36:37], a[32:35]
	; sched_group_barrier mask(0x00000008) size(1) SyncID(0)
	; sched_group_barrier mask(0x00000200) size(1) SyncID(0)
	v_mfma_f32_16x16x16f16 a[32:35], v[40:41], v[4:5], a[32:35]
	ds_read_b128 v[38:41], v149 offset:1536
	; sched_group_barrier mask(0x00000008) size(1) SyncID(0)
	; sched_group_barrier mask(0x00000100) size(1) SyncID(0)
	v_mfma_f32_16x16x16f16 a[24:27], v[10:11], v[6:7], a[24:27]
	; sched_group_barrier mask(0x00000008) size(1) SyncID(0)
	; sched_group_barrier mask(0x00000100) size(0) SyncID(0)
	v_mfma_f32_16x16x16f16 a[16:19], v[10:11], v[14:15], a[16:19]
	v_mfma_f32_16x16x16f16 a[16:19], v[12:13], v[22:23], a[16:19]
	;; [unrolled: 1-line block ×3, first 2 shown]
	ds_read_b128 v[6:9], v149 offset:2048
	s_nop 7
	s_nop 0
	v_accvgpr_read_b32 v61, a19
	v_accvgpr_read_b32 v60, a18
	;; [unrolled: 1-line block ×4, first 2 shown]
	v_accvgpr_write_b32 a16, v112
	v_accvgpr_write_b32 a17, v113
	;; [unrolled: 1-line block ×4, first 2 shown]
	v_mfma_f32_16x16x16f16 a[24:27], v[12:13], v[18:19], a[24:27]
	s_nop 0
	v_mfma_f32_16x16x16f16 a[236:239], v[10:11], v[16:17], a[16:19]
	ds_read_b128 v[14:17], v149 offset:2560
	v_mfma_f32_16x16x16f16 a[16:19], v[12:13], v[24:25], a[236:239]
	ds_read_b128 v[22:25], v149 offset:3584
	;; [unrolled: 2-line block ×3, first 2 shown]
	; sched_group_barrier mask(0x00000008) size(7) SyncID(0)
	s_nop 7
	v_accvgpr_read_b32 v65, a19
	v_accvgpr_read_b32 v64, a18
	v_accvgpr_read_b32 v63, a17
	v_accvgpr_read_b32 v62, a16
	v_accvgpr_write_b32 a16, v108
	v_accvgpr_write_b32 a17, v109
	v_accvgpr_write_b32 a18, v110
	v_accvgpr_write_b32 a19, v111
	s_nop 1
	v_mfma_f32_16x16x16f16 a[240:243], v[10:11], v[26:27], a[16:19]
	v_mfma_f32_16x16x16f16 a[16:19], v[12:13], v[30:31], a[240:243]
	s_nop 7
	s_nop 2
	v_accvgpr_read_b32 v111, a19
	v_accvgpr_read_b32 v110, a18
	v_accvgpr_read_b32 v109, a17
	v_accvgpr_read_b32 v108, a16
	v_accvgpr_write_b32 a16, v104
	v_accvgpr_write_b32 a17, v105
	v_accvgpr_write_b32 a18, v106
	v_accvgpr_write_b32 a19, v107
	s_nop 1
	v_mfma_f32_16x16x16f16 a[244:247], v[10:11], v[28:29], a[16:19]
	v_mfma_f32_16x16x16f16 a[16:19], v[12:13], v[32:33], a[244:247]
	s_nop 7
	;; [unrolled: 13-line block ×3, first 2 shown]
	s_nop 2
	v_accvgpr_read_b32 v33, a19
	v_accvgpr_read_b32 v32, a18
	;; [unrolled: 1-line block ×4, first 2 shown]
	v_accvgpr_write_b32 a16, v116
	v_accvgpr_write_b32 a17, v117
	;; [unrolled: 1-line block ×4, first 2 shown]
	s_nop 1
	v_mfma_f32_16x16x16f16 a[252:255], v[10:11], v[36:37], a[16:19]
	v_mfma_f32_16x16x16f16 a[252:255], v[12:13], v[4:5], a[252:255]
	; sched_barrier mask(0x00000000)
	s_waitcnt lgkmcnt(14)
	v_mfma_f32_16x16x16f16 a[0:3], v[94:95], v[90:91], a[0:3]
	s_waitcnt lgkmcnt(0)
	s_barrier
	; sched_group_barrier mask(0x00000100) size(1) SyncID(0)
	v_mfma_f32_16x16x16f16 a[4:7], v[94:95], v[92:93], a[4:7]
	v_mfma_f32_16x16x16f16 a[8:11], v[94:95], v[70:71], a[8:11]
	;; [unrolled: 1-line block ×7, first 2 shown]
	; sched_group_barrier mask(0x00000008) size(8) SyncID(0)
	; sched_group_barrier mask(0x00000100) size(1) SyncID(0)
	v_mfma_f32_16x16x16f16 a[132:135], v[94:95], v[42:43], a[132:135]
	v_mfma_f32_16x16x16f16 a[4:7], v[96:97], v[50:51], a[132:135]
	;; [unrolled: 1-line block ×3, first 2 shown]
	s_nop 7
	s_nop 1
	v_accvgpr_read_b32 v2, a4
	v_accvgpr_read_b32 v3, a5
	v_accvgpr_read_b32 v4, a6
	v_accvgpr_read_b32 v5, a7
	v_mfma_f32_16x16x16f16 a[124:127], v[94:95], v[76:77], a[124:127]
	v_mfma_f32_16x16x16f16 a[136:139], v[94:95], v[44:45], a[136:139]
	;; [unrolled: 1-line block ×5, first 2 shown]
	; sched_group_barrier mask(0x00000008) size(8) SyncID(0)
	; sched_group_barrier mask(0x00000100) size(1) SyncID(0)
	v_mfma_f32_16x16x16f16 a[140:143], v[54:55], v[90:91], a[140:143]
	s_nop 7
	s_nop 1
	v_accvgpr_read_b32 v13, a7
	v_accvgpr_read_b32 v12, a6
	;; [unrolled: 1-line block ×3, first 2 shown]
	v_mfma_f32_16x16x16f16 a[144:147], v[54:55], v[92:93], a[144:147]
	v_accvgpr_read_b32 v10, a4
	v_mfma_f32_16x16x16f16 a[148:151], v[54:55], v[70:71], a[148:151]
	v_mfma_f32_16x16x16f16 a[152:155], v[54:55], v[72:73], a[152:155]
	;; [unrolled: 1-line block ×6, first 2 shown]
	; sched_group_barrier mask(0x00000008) size(8) SyncID(0)
	; sched_group_barrier mask(0x00000100) size(1) SyncID(0)
	v_mfma_f32_16x16x16f16 a[156:159], v[54:55], v[74:75], a[156:159]
	v_mfma_f32_16x16x16f16 a[164:167], v[54:55], v[76:77], a[164:167]
	;; [unrolled: 1-line block ×8, first 2 shown]
	; sched_group_barrier mask(0x00000008) size(8) SyncID(0)
	; sched_group_barrier mask(0x00000100) size(1) SyncID(0)
	v_mfma_f32_16x16x16f16 a[184:187], v[46:47], v[70:71], a[184:187]
	v_mfma_f32_16x16x16f16 a[4:7], v[48:49], v[78:79], a[184:187]
	v_mfma_f32_16x16x16f16 a[176:179], v[46:47], v[90:91], a[176:179]
	s_nop 7
	s_nop 1
	v_accvgpr_read_b32 v37, a7
	v_accvgpr_read_b32 v36, a6
	;; [unrolled: 1-line block ×4, first 2 shown]
	v_accvgpr_write_b32 a4, v174
	v_accvgpr_write_b32 a5, v175
	;; [unrolled: 1-line block ×4, first 2 shown]
	v_mfma_f32_16x16x16f16 a[180:183], v[46:47], v[92:93], a[180:183]
	s_nop 0
	v_mfma_f32_16x16x16f16 a[184:187], v[46:47], v[72:73], a[4:7]
	s_nop 6
	v_accvgpr_write_b32 a4, v170
	v_accvgpr_write_b32 a5, v171
	v_accvgpr_write_b32 a6, v172
	v_accvgpr_write_b32 a7, v173
	v_mfma_f32_16x16x16f16 a[176:179], v[48:49], v[82:83], a[176:179]
	v_mfma_f32_16x16x16f16 a[180:183], v[48:49], v[84:85], a[180:183]
	;; [unrolled: 1-line block ×3, first 2 shown]
	; sched_group_barrier mask(0x00000008) size(8) SyncID(0)
	; sched_group_barrier mask(0x00000100) size(1) SyncID(0)
	v_mfma_f32_16x16x16f16 a[184:187], v[46:47], v[74:75], a[4:7]
	s_nop 6
	v_accvgpr_write_b32 a4, v166
	v_accvgpr_write_b32 a5, v167
	;; [unrolled: 1-line block ×4, first 2 shown]
	v_mfma_f32_16x16x16f16 a[240:243], v[48:49], v[86:87], a[184:187]
	s_nop 0
	v_mfma_f32_16x16x16f16 a[184:187], v[46:47], v[76:77], a[4:7]
	s_nop 6
	v_accvgpr_write_b32 a4, v162
	v_accvgpr_write_b32 a5, v163
	;; [unrolled: 1-line block ×4, first 2 shown]
	v_mfma_f32_16x16x16f16 a[248:251], v[48:49], v[88:89], a[184:187]
	s_nop 0
	v_mfma_f32_16x16x16f16 a[184:187], v[46:47], v[42:43], a[4:7]
	v_mfma_f32_16x16x16f16 a[4:7], v[48:49], v[50:51], a[184:187]
	s_nop 7
	s_nop 2
	v_accvgpr_read_b32 v101, a7
	v_accvgpr_read_b32 v100, a6
	;; [unrolled: 1-line block ×4, first 2 shown]
	v_accvgpr_write_b32 a4, v178
	v_accvgpr_write_b32 a5, v179
	;; [unrolled: 1-line block ×4, first 2 shown]
	s_nop 1
	v_mfma_f32_16x16x16f16 a[184:187], v[46:47], v[44:45], a[4:7]
	v_mfma_f32_16x16x16f16 a[4:7], v[48:49], v[52:53], a[184:187]
	; sched_group_barrier mask(0x00000008) size(8) SyncID(0)
	; sched_group_barrier mask(0x00000100) size(1) SyncID(0)
	s_nop 7
	s_nop 2
	v_accvgpr_read_b32 v105, a7
	v_accvgpr_read_b32 v104, a6
	;; [unrolled: 1-line block ×4, first 2 shown]
	v_accvgpr_write_b32 a4, v158
	v_accvgpr_write_b32 a5, v159
	;; [unrolled: 1-line block ×4, first 2 shown]
	s_nop 1
	v_mfma_f32_16x16x16f16 a[184:187], v[38:39], v[90:91], a[4:7]
	s_nop 6
	v_accvgpr_write_b32 a4, v152
	v_accvgpr_write_b32 a5, v153
	v_accvgpr_write_b32 a6, v154
	v_accvgpr_write_b32 a7, v155
	v_mfma_f32_16x16x16f16 a[156:159], v[40:41], v[82:83], a[184:187]
	s_nop 0
	v_mfma_f32_16x16x16f16 a[184:187], v[38:39], v[92:93], a[4:7]
	s_nop 6
	v_accvgpr_write_b32 a4, v140
	v_accvgpr_write_b32 a5, v141
	v_accvgpr_write_b32 a6, v142
	v_accvgpr_write_b32 a7, v143
	v_mfma_f32_16x16x16f16 a[160:163], v[40:41], v[84:85], a[184:187]
	s_nop 0
	v_mfma_f32_16x16x16f16 a[184:187], v[38:39], v[70:71], a[4:7]
	s_nop 6
	v_accvgpr_write_b32 a4, v136
	v_accvgpr_write_b32 a5, v137
	v_accvgpr_write_b32 a6, v138
	v_accvgpr_write_b32 a7, v139
	v_mfma_f32_16x16x16f16 a[164:167], v[40:41], v[78:79], a[184:187]
	s_nop 0
	v_mfma_f32_16x16x16f16 a[184:187], v[38:39], v[72:73], a[4:7]
	s_nop 6
	v_accvgpr_write_b32 a4, v132
	v_accvgpr_write_b32 a5, v133
	v_accvgpr_write_b32 a6, v134
	v_accvgpr_write_b32 a7, v135
	v_mfma_f32_16x16x16f16 a[168:171], v[40:41], v[80:81], a[184:187]
	; sched_group_barrier mask(0x00000008) size(8) SyncID(0)
	; sched_group_barrier mask(0x00000100) size(1) SyncID(0)
	s_nop 0
	v_mfma_f32_16x16x16f16 a[184:187], v[38:39], v[74:75], a[4:7]
	s_nop 6
	v_accvgpr_write_b32 a4, v128
	v_accvgpr_write_b32 a5, v129
	;; [unrolled: 1-line block ×4, first 2 shown]
	v_mfma_f32_16x16x16f16 a[144:147], v[40:41], v[86:87], a[184:187]
	s_nop 0
	v_mfma_f32_16x16x16f16 a[184:187], v[38:39], v[76:77], a[4:7]
	v_mfma_f32_16x16x16f16 a[148:151], v[40:41], v[88:89], a[184:187]
	s_nop 5
	v_accvgpr_write_b32 a4, v66
	v_accvgpr_write_b32 a5, v67
	;; [unrolled: 1-line block ×4, first 2 shown]
	v_mfma_f32_16x16x16f16 a[184:187], v[38:39], v[42:43], a[128:131]
	v_mfma_f32_16x16x16f16 a[152:155], v[40:41], v[50:51], a[184:187]
	;; [unrolled: 1-line block ×3, first 2 shown]
	s_nop 6
	v_accvgpr_write_b32 a4, v124
	v_accvgpr_write_b32 a5, v125
	;; [unrolled: 1-line block ×4, first 2 shown]
	v_mfma_f32_16x16x16f16 a[244:247], v[40:41], v[52:53], a[184:187]
	; sched_group_barrier mask(0x00000008) size(8) SyncID(0)
	; sched_group_barrier mask(0x00000100) size(1) SyncID(0)
	s_nop 0
	v_mfma_f32_16x16x16f16 a[184:187], v[6:7], v[90:91], a[4:7]
	v_mfma_f32_16x16x16f16 a[128:131], v[8:9], v[82:83], a[184:187]
	s_nop 5
	v_accvgpr_write_b32 a4, v58
	v_accvgpr_write_b32 a5, v59
	;; [unrolled: 1-line block ×4, first 2 shown]
	v_mfma_f32_16x16x16f16 a[184:187], v[6:7], v[92:93], a[120:123]
	v_mfma_f32_16x16x16f16 a[132:135], v[8:9], v[84:85], a[184:187]
	v_mfma_f32_16x16x16f16 a[184:187], v[6:7], v[70:71], a[116:119]
	v_mfma_f32_16x16x16f16 a[136:139], v[8:9], v[78:79], a[184:187]
	v_mfma_f32_16x16x16f16 a[184:187], v[6:7], v[72:73], a[112:115]
	v_mfma_f32_16x16x16f16 a[140:143], v[8:9], v[80:81], a[184:187]
	; sched_group_barrier mask(0x00000008) size(8) SyncID(0)
	; sched_group_barrier mask(0x00000100) size(1) SyncID(0)
	v_mfma_f32_16x16x16f16 a[184:187], v[6:7], v[74:75], a[108:111]
	v_mfma_f32_16x16x16f16 a[112:115], v[8:9], v[86:87], a[184:187]
	v_mfma_f32_16x16x16f16 a[184:187], v[6:7], v[76:77], a[104:107]
	v_mfma_f32_16x16x16f16 a[116:119], v[8:9], v[88:89], a[184:187]
	v_mfma_f32_16x16x16f16 a[184:187], v[6:7], v[42:43], a[100:103]
	v_mfma_f32_16x16x16f16 a[120:123], v[8:9], v[50:51], a[184:187]
	v_mfma_f32_16x16x16f16 a[184:187], v[6:7], v[44:45], a[96:99]
	v_mfma_f32_16x16x16f16 a[124:127], v[8:9], v[52:53], a[184:187]
	; sched_group_barrier mask(0x00000008) size(8) SyncID(0)
	; sched_group_barrier mask(0x00000100) size(1) SyncID(0)
	v_mfma_f32_16x16x16f16 a[220:223], v[14:15], v[70:71], a[220:223]
	v_mfma_f32_16x16x16f16 a[184:187], v[14:15], v[90:91], a[92:95]
	;; [unrolled: 10-line block ×6, first 2 shown]
	v_mfma_f32_16x16x16f16 a[220:223], v[22:23], v[92:93], a[20:23]
	v_mfma_f32_16x16x16f16 a[32:35], v[24:25], v[84:85], a[220:223]
	v_mfma_f32_16x16x16f16 a[220:223], v[22:23], v[70:71], a[4:7]
	s_nop 6
	v_accvgpr_write_b32 a4, v62
	v_accvgpr_write_b32 a5, v63
	;; [unrolled: 1-line block ×4, first 2 shown]
	v_mfma_f32_16x16x16f16 a[36:39], v[24:25], v[78:79], a[220:223]
	s_nop 0
	v_mfma_f32_16x16x16f16 a[220:223], v[22:23], v[72:73], a[4:7]
	s_nop 6
	v_accvgpr_write_b32 a4, v108
	v_accvgpr_write_b32 a5, v109
	;; [unrolled: 1-line block ×4, first 2 shown]
	v_mfma_f32_16x16x16f16 a[40:43], v[24:25], v[80:81], a[220:223]
	; sched_group_barrier mask(0x00000008) size(8) SyncID(0)
	; sched_group_barrier mask(0x00000100) size(1) SyncID(0)
	s_nop 0
	v_mfma_f32_16x16x16f16 a[220:223], v[22:23], v[74:75], a[4:7]
	s_nop 6
	v_accvgpr_write_b32 a4, v26
	v_accvgpr_write_b32 a5, v27
	;; [unrolled: 1-line block ×4, first 2 shown]
	v_mfma_f32_16x16x16f16 a[44:47], v[24:25], v[86:87], a[220:223]
	s_nop 0
	v_mfma_f32_16x16x16f16 a[220:223], v[22:23], v[76:77], a[4:7]
	s_nop 6
	v_accvgpr_write_b32 a4, v30
	v_accvgpr_write_b32 a5, v31
	;; [unrolled: 1-line block ×4, first 2 shown]
	v_mfma_f32_16x16x16f16 a[48:51], v[24:25], v[88:89], a[220:223]
	s_nop 0
	v_mfma_f32_16x16x16f16 a[220:223], v[22:23], v[42:43], a[4:7]
	v_mfma_f32_16x16x16f16 a[24:27], v[24:25], v[50:51], a[220:223]
	;; [unrolled: 1-line block ×4, first 2 shown]
	; sched_group_barrier mask(0x00000008) size(8) SyncID(0)
	; sched_barrier mask(0x00000000)
	v_mfma_f32_16x16x16f16 a[196:199], v[94:95], v[92:93], a[196:199]
	v_mfma_f32_16x16x16f16 a[4:7], v[96:97], v[84:85], a[196:199]
	;; [unrolled: 1-line block ×10, first 2 shown]
	s_nop 7
	s_nop 1
	v_accvgpr_write_b32 a199, v5
	v_accvgpr_write_b32 a198, v4
	;; [unrolled: 1-line block ×4, first 2 shown]
	v_mfma_f32_16x16x16f16 a[188:191], v[54:55], v[92:93], a[188:191]
	s_nop 0
	v_mfma_f32_16x16x16f16 a[196:199], v[94:95], v[42:43], a[196:199]
	v_mfma_f32_16x16x16f16 a[228:231], v[96:97], v[50:51], a[196:199]
	s_nop 7
	s_nop 1
	v_accvgpr_write_b32 a199, v13
	v_accvgpr_write_b32 a198, v12
	v_accvgpr_write_b32 a197, v11
	v_accvgpr_write_b32 a196, v10
	v_mfma_f32_16x16x16f16 a[220:223], v[94:95], v[90:91], a[0:3]
	s_nop 0
	v_mfma_f32_16x16x16f16 a[196:199], v[94:95], v[44:45], a[196:199]
	v_mfma_f32_16x16x16f16 a[224:227], v[96:97], v[52:53], a[196:199]
	;; [unrolled: 1-line block ×21, first 2 shown]
	s_nop 7
	s_nop 0
	v_accvgpr_write_b32 a179, v37
	v_accvgpr_write_b32 a178, v36
	;; [unrolled: 1-line block ×4, first 2 shown]
	v_mfma_f32_16x16x16f16 a[172:175], v[46:47], v[72:73], a[172:175]
	s_nop 0
	v_mfma_f32_16x16x16f16 a[176:179], v[46:47], v[70:71], a[176:179]
	v_mfma_f32_16x16x16f16 a[156:159], v[40:41], v[82:83], a[156:159]
	;; [unrolled: 1-line block ×3, first 2 shown]
	s_nop 7
	s_nop 1
	v_accvgpr_read_b32 v26, a156
	v_accvgpr_read_b32 v27, a157
	;; [unrolled: 1-line block ×4, first 2 shown]
	v_mfma_f32_16x16x16f16 a[176:179], v[48:49], v[80:81], a[172:175]
	v_mfma_f32_16x16x16f16 a[172:175], v[46:47], v[74:75], a[240:243]
	;; [unrolled: 1-line block ×3, first 2 shown]
	s_nop 6
	v_accvgpr_write_b32 a251, v101
	v_accvgpr_write_b32 a250, v100
	;; [unrolled: 1-line block ×4, first 2 shown]
	v_mfma_f32_16x16x16f16 a[156:159], v[38:39], v[92:93], a[160:163]
	s_nop 0
	v_mfma_f32_16x16x16f16 a[248:251], v[46:47], v[42:43], a[248:251]
	v_mfma_f32_16x16x16f16 a[252:255], v[48:49], v[50:51], a[248:251]
	s_nop 7
	s_nop 1
	v_accvgpr_write_b32 a251, v105
	v_accvgpr_write_b32 a250, v104
	;; [unrolled: 1-line block ×4, first 2 shown]
	v_mfma_f32_16x16x16f16 a[156:159], v[40:41], v[84:85], a[156:159]
	s_nop 0
	v_mfma_f32_16x16x16f16 a[248:251], v[46:47], v[44:45], a[248:251]
	s_nop 7
	s_nop 0
	v_accvgpr_read_b32 v30, a156
	v_accvgpr_read_b32 v31, a157
	v_accvgpr_read_b32 v32, a158
	v_accvgpr_read_b32 v33, a159
	v_mfma_f32_16x16x16f16 a[248:251], v[48:49], v[52:53], a[248:251]
	v_mfma_f32_16x16x16f16 a[156:159], v[38:39], v[70:71], a[164:167]
	s_nop 7
	s_nop 1
	v_accvgpr_read_b32 v34, a248
	v_accvgpr_read_b32 v35, a249
	;; [unrolled: 1-line block ×4, first 2 shown]
	v_mfma_f32_16x16x16f16 a[84:87], v[14:15], v[92:93], a[84:87]
	v_mfma_f32_16x16x16f16 a[248:251], v[40:41], v[78:79], a[156:159]
	;; [unrolled: 1-line block ×24, first 2 shown]
	s_nop 4
	v_accvgpr_read_b32 v8, a84
	v_accvgpr_read_b32 v9, a85
	;; [unrolled: 1-line block ×4, first 2 shown]
	v_mfma_f32_16x16x16f16 a[84:87], v[14:15], v[72:73], a[92:95]
	v_mfma_f32_16x16x16f16 a[64:67], v[18:19], v[90:91], a[64:67]
	;; [unrolled: 1-line block ×48, first 2 shown]
	; sched_group_barrier mask(0x00000008) size(64) SyncID(0)
	v_mfma_f32_16x16x16f16 a[84:87], v[16:17], v[88:89], a[84:87]
	v_mfma_f32_16x16x16f16 a[88:91], v[16:17], v[50:51], a[88:91]
	;; [unrolled: 1-line block ×7, first 2 shown]
	; sched_barrier mask(0x00000000)
	v_and_b32_e32 v1, 15, v0
	v_lshrrev_b32_e32 v2, 2, v0
	v_lshlrev_b32_e32 v3, 2, v0
	s_movk_i32 s5, 0x180
	v_and_b32_e32 v2, 16, v2
	v_and_b32_e32 v4, 0x200, v3
	v_and_or_b32 v1, v146, s5, v1
	v_or3_b32 v2, v1, v4, v2
	v_lshrrev_b32_e32 v4, 3, v0
	v_and_b32_e32 v3, 28, v3
	v_or_b32_e32 v0, s3, v3
	v_lshl_or_b32 v1, s2, 8, v4
	v_mad_u64_u32 v[0:1], s[2:3], v1, s21, v[0:1]
	v_accvgpr_read_b32 v1, a0
	v_cvt_f16_f32_e32 v5, v1
	v_lshlrev_b32_e32 v1, 1, v2
	v_accvgpr_read_b32 v2, a1
	v_cvt_f16_f32_e32 v2, v2
	v_accvgpr_read_b32 v6, a2
	v_accvgpr_read_b32 v7, a3
	v_cvt_f16_f32_e32 v6, v6
	v_cvt_f16_f32_e32 v7, v7
	s_waitcnt lgkmcnt(0)
	s_barrier
	ds_write_b16 v1, v2 offset:64
	v_lshlrev_b32_e32 v2, 1, v3
	v_lshl_or_b32 v2, v4, 6, v2
	ds_write_b16 v1, v5
	ds_write_b16 v1, v6 offset:128
	ds_write_b16 v1, v7 offset:192
	s_waitcnt lgkmcnt(0)
	s_barrier
	ds_read_b64 v[4:5], v2
	s_add_i32 s2, s9, s4
	s_lshl_b32 s2, s2, 1
	s_mov_b32 s3, 0x20000
	v_lshlrev_b32_e32 v3, 1, v0
	s_waitcnt lgkmcnt(0)
	buffer_store_dwordx2 v[4:5], v3, s[0:3], 0 offen
	v_accvgpr_read_b32 v4, a4
	v_accvgpr_read_b32 v5, a5
	;; [unrolled: 1-line block ×4, first 2 shown]
	v_cvt_f16_f32_e32 v4, v4
	v_cvt_f16_f32_e32 v5, v5
	;; [unrolled: 1-line block ×4, first 2 shown]
	s_waitcnt lgkmcnt(0)
	s_barrier
	ds_write_b16 v1, v4
	ds_write_b16 v1, v5 offset:64
	ds_write_b16 v1, v6 offset:128
	ds_write_b16 v1, v7 offset:192
	s_waitcnt lgkmcnt(0)
	s_barrier
	ds_read_b64 v[4:5], v2
	v_accvgpr_read_b32 v6, a10
	v_accvgpr_read_b32 v7, a11
	v_cvt_f16_f32_e32 v6, v6
	v_cvt_f16_f32_e32 v7, v7
	s_waitcnt lgkmcnt(0)
	buffer_store_dwordx2 v[4:5], v3, s[0:3], 0 offen offset:64
	v_accvgpr_read_b32 v4, a8
	v_accvgpr_read_b32 v5, a9
	v_cvt_f16_f32_e32 v4, v4
	v_cvt_f16_f32_e32 v5, v5
	s_waitcnt lgkmcnt(0)
	s_barrier
	ds_write_b16 v1, v4
	ds_write_b16 v1, v5 offset:64
	ds_write_b16 v1, v6 offset:128
	ds_write_b16 v1, v7 offset:192
	s_waitcnt lgkmcnt(0)
	s_barrier
	ds_read_b64 v[4:5], v2
	v_accvgpr_read_b32 v6, a14
	v_accvgpr_read_b32 v7, a15
	v_cvt_f16_f32_e32 v6, v6
	v_cvt_f16_f32_e32 v7, v7
	s_waitcnt lgkmcnt(0)
	buffer_store_dwordx2 v[4:5], v3, s[0:3], 0 offen offset:128
	v_accvgpr_read_b32 v4, a12
	v_accvgpr_read_b32 v5, a13
	v_cvt_f16_f32_e32 v4, v4
	v_cvt_f16_f32_e32 v5, v5
	;; [unrolled: 19-line block ×5, first 2 shown]
	s_waitcnt lgkmcnt(0)
	s_barrier
	ds_write_b16 v1, v4
	ds_write_b16 v1, v5 offset:64
	ds_write_b16 v1, v6 offset:128
	;; [unrolled: 1-line block ×3, first 2 shown]
	s_waitcnt lgkmcnt(0)
	s_barrier
	ds_read_b64 v[4:5], v2
	v_accvgpr_read_b32 v6, a227
	v_cvt_f16_f32_e32 v6, v6
	v_accvgpr_read_b32 v7, a223
	v_cvt_f16_f32_e32 v7, v7
	s_waitcnt lgkmcnt(0)
	buffer_store_dwordx2 v[4:5], v3, s[0:3], 0 offen offset:384
	v_accvgpr_read_b32 v3, a224
	v_accvgpr_read_b32 v4, a225
	;; [unrolled: 1-line block ×3, first 2 shown]
	v_cvt_f16_f32_e32 v3, v3
	v_cvt_f16_f32_e32 v4, v4
	;; [unrolled: 1-line block ×3, first 2 shown]
	s_waitcnt lgkmcnt(0)
	s_barrier
	ds_write_b16 v1, v3
	ds_write_b16 v1, v4 offset:64
	ds_write_b16 v1, v5 offset:128
	;; [unrolled: 1-line block ×3, first 2 shown]
	s_waitcnt lgkmcnt(0)
	s_barrier
	ds_read_b64 v[4:5], v2
	v_add_u32_e32 v3, 0xe0, v0
	v_lshlrev_b32_e32 v6, 1, v3
	s_lshl_b32 s4, s21, 5
	v_add_lshl_u32 v3, v3, s4, 1
	s_waitcnt lgkmcnt(0)
	buffer_store_dwordx2 v[4:5], v6, s[0:3], 0 offen
	v_accvgpr_read_b32 v4, a220
	v_accvgpr_read_b32 v5, a221
	;; [unrolled: 1-line block ×3, first 2 shown]
	v_cvt_f16_f32_e32 v4, v4
	v_cvt_f16_f32_e32 v5, v5
	;; [unrolled: 1-line block ×3, first 2 shown]
	s_waitcnt lgkmcnt(0)
	s_barrier
	ds_write_b16 v1, v4
	ds_write_b16 v1, v5 offset:64
	ds_write_b16 v1, v6 offset:128
	;; [unrolled: 1-line block ×3, first 2 shown]
	s_waitcnt lgkmcnt(0)
	s_barrier
	ds_read_b64 v[4:5], v2
	v_accvgpr_read_b32 v6, a218
	v_accvgpr_read_b32 v7, a219
	v_cvt_f16_f32_e32 v6, v6
	v_cvt_f16_f32_e32 v7, v7
	s_waitcnt lgkmcnt(0)
	buffer_store_dwordx2 v[4:5], v3, s[0:3], 0 offen
	v_accvgpr_read_b32 v4, a216
	v_accvgpr_read_b32 v5, a217
	v_cvt_f16_f32_e32 v4, v4
	v_cvt_f16_f32_e32 v5, v5
	s_waitcnt lgkmcnt(0)
	s_barrier
	ds_write_b16 v1, v4
	ds_write_b16 v1, v5 offset:64
	ds_write_b16 v1, v6 offset:128
	;; [unrolled: 1-line block ×3, first 2 shown]
	s_waitcnt lgkmcnt(0)
	s_barrier
	ds_read_b64 v[4:5], v2
	v_subrev_u32_e32 v6, 64, v3
	v_accvgpr_read_b32 v7, a215
	v_cvt_f16_f32_e32 v7, v7
	v_add_u32_e32 v0, s4, v0
	s_waitcnt lgkmcnt(0)
	buffer_store_dwordx2 v[4:5], v6, s[0:3], 0 offen
	v_accvgpr_read_b32 v4, a212
	v_accvgpr_read_b32 v5, a213
	v_accvgpr_read_b32 v6, a214
	v_cvt_f16_f32_e32 v4, v4
	v_cvt_f16_f32_e32 v5, v5
	v_cvt_f16_f32_e32 v6, v6
	s_waitcnt lgkmcnt(0)
	s_barrier
	ds_write_b16 v1, v4
	ds_write_b16 v1, v5 offset:64
	ds_write_b16 v1, v6 offset:128
	ds_write_b16 v1, v7 offset:192
	s_waitcnt lgkmcnt(0)
	s_barrier
	ds_read_b64 v[4:5], v2
	v_add_u32_e32 v6, 0xffffff80, v3
	v_accvgpr_read_b32 v7, a211
	v_cvt_f16_f32_e32 v7, v7
	s_waitcnt lgkmcnt(0)
	buffer_store_dwordx2 v[4:5], v6, s[0:3], 0 offen
	v_accvgpr_read_b32 v4, a208
	v_accvgpr_read_b32 v5, a209
	v_accvgpr_read_b32 v6, a210
	v_cvt_f16_f32_e32 v4, v4
	v_cvt_f16_f32_e32 v5, v5
	v_cvt_f16_f32_e32 v6, v6
	s_waitcnt lgkmcnt(0)
	s_barrier
	ds_write_b16 v1, v4
	ds_write_b16 v1, v5 offset:64
	ds_write_b16 v1, v6 offset:128
	ds_write_b16 v1, v7 offset:192
	s_waitcnt lgkmcnt(0)
	s_barrier
	ds_read_b64 v[4:5], v2
	v_add_u32_e32 v6, 0xffffff40, v3
	v_accvgpr_read_b32 v7, a207
	v_cvt_f16_f32_e32 v7, v7
	;; [unrolled: 20-line block ×4, first 2 shown]
	v_add_u32_e32 v3, 0xfffffe80, v3
	s_waitcnt lgkmcnt(0)
	buffer_store_dwordx2 v[4:5], v6, s[0:3], 0 offen
	v_accvgpr_read_b32 v4, a196
	v_accvgpr_read_b32 v5, a197
	;; [unrolled: 1-line block ×3, first 2 shown]
	v_cvt_f16_f32_e32 v4, v4
	v_cvt_f16_f32_e32 v5, v5
	;; [unrolled: 1-line block ×3, first 2 shown]
	s_waitcnt lgkmcnt(0)
	s_barrier
	ds_write_b16 v1, v4
	ds_write_b16 v1, v5 offset:64
	ds_write_b16 v1, v6 offset:128
	;; [unrolled: 1-line block ×3, first 2 shown]
	s_waitcnt lgkmcnt(0)
	s_barrier
	ds_read_b64 v[4:5], v2
	v_accvgpr_read_b32 v6, a195
	v_cvt_f16_f32_e32 v6, v6
	v_accvgpr_read_b32 v7, a239
	v_cvt_f16_f32_e32 v7, v7
	s_waitcnt lgkmcnt(0)
	buffer_store_dwordx2 v[4:5], v3, s[0:3], 0 offen
	v_accvgpr_read_b32 v3, a192
	v_accvgpr_read_b32 v4, a193
	;; [unrolled: 1-line block ×3, first 2 shown]
	v_cvt_f16_f32_e32 v3, v3
	v_cvt_f16_f32_e32 v4, v4
	;; [unrolled: 1-line block ×3, first 2 shown]
	s_waitcnt lgkmcnt(0)
	s_barrier
	ds_write_b16 v1, v3
	ds_write_b16 v1, v4 offset:64
	ds_write_b16 v1, v5 offset:128
	;; [unrolled: 1-line block ×3, first 2 shown]
	s_waitcnt lgkmcnt(0)
	s_barrier
	ds_read_b64 v[4:5], v2
	v_lshlrev_b32_e32 v3, 1, v0
	v_accvgpr_read_b32 v6, a191
	v_cvt_f16_f32_e32 v6, v6
	v_add_u32_e32 v0, s4, v0
	s_waitcnt lgkmcnt(0)
	buffer_store_dwordx2 v[4:5], v3, s[0:3], 0 offen
	v_accvgpr_read_b32 v3, a188
	v_accvgpr_read_b32 v4, a189
	;; [unrolled: 1-line block ×3, first 2 shown]
	v_cvt_f16_f32_e32 v3, v3
	v_cvt_f16_f32_e32 v4, v4
	;; [unrolled: 1-line block ×3, first 2 shown]
	s_waitcnt lgkmcnt(0)
	s_barrier
	ds_write_b16 v1, v3
	ds_write_b16 v1, v4 offset:64
	ds_write_b16 v1, v5 offset:128
	;; [unrolled: 1-line block ×3, first 2 shown]
	s_waitcnt lgkmcnt(0)
	s_barrier
	ds_read_b64 v[4:5], v2
	v_lshlrev_b32_e32 v3, 1, v0
	v_accvgpr_read_b32 v6, a238
	v_cvt_f16_f32_e32 v6, v6
	s_waitcnt lgkmcnt(0)
	buffer_store_dwordx2 v[4:5], v3, s[0:3], 0 offen
	v_accvgpr_read_b32 v4, a236
	v_accvgpr_read_b32 v5, a237
	v_cvt_f16_f32_e32 v4, v4
	v_cvt_f16_f32_e32 v5, v5
	s_waitcnt lgkmcnt(0)
	s_barrier
	ds_write_b16 v1, v4
	ds_write_b16 v1, v5 offset:64
	ds_write_b16 v1, v6 offset:128
	ds_write_b16 v1, v7 offset:192
	s_waitcnt lgkmcnt(0)
	s_barrier
	ds_read_b64 v[4:5], v2
	v_accvgpr_read_b32 v6, a182
	v_accvgpr_read_b32 v7, a183
	v_cvt_f16_f32_e32 v6, v6
	v_cvt_f16_f32_e32 v7, v7
	s_waitcnt lgkmcnt(0)
	buffer_store_dwordx2 v[4:5], v3, s[0:3], 0 offen offset:64
	v_accvgpr_read_b32 v4, a180
	v_accvgpr_read_b32 v5, a181
	v_cvt_f16_f32_e32 v4, v4
	v_cvt_f16_f32_e32 v5, v5
	s_waitcnt lgkmcnt(0)
	s_barrier
	ds_write_b16 v1, v4
	ds_write_b16 v1, v5 offset:64
	ds_write_b16 v1, v6 offset:128
	ds_write_b16 v1, v7 offset:192
	s_waitcnt lgkmcnt(0)
	s_barrier
	ds_read_b64 v[4:5], v2
	v_accvgpr_read_b32 v6, a178
	v_accvgpr_read_b32 v7, a179
	v_cvt_f16_f32_e32 v6, v6
	v_cvt_f16_f32_e32 v7, v7
	s_waitcnt lgkmcnt(0)
	buffer_store_dwordx2 v[4:5], v3, s[0:3], 0 offen offset:128
	;; [unrolled: 19-line block ×5, first 2 shown]
	v_accvgpr_read_b32 v4, a252
	v_accvgpr_read_b32 v5, a253
	v_cvt_f16_f32_e32 v4, v4
	v_cvt_f16_f32_e32 v5, v5
	s_waitcnt lgkmcnt(0)
	s_barrier
	ds_write_b16 v1, v4
	ds_write_b16 v1, v5 offset:64
	ds_write_b16 v1, v6 offset:128
	ds_write_b16 v1, v7 offset:192
	s_waitcnt lgkmcnt(0)
	s_barrier
	ds_read_b64 v[4:5], v2
	s_waitcnt lgkmcnt(0)
	buffer_store_dwordx2 v[4:5], v3, s[0:3], 0 offen offset:384
	v_pk_mov_b32 v[4:5], v[34:35], v[34:35] op_sel:[0,1]
	v_pk_mov_b32 v[6:7], v[36:37], v[36:37] op_sel:[0,1]
	v_mov_b32_e32 v3, v4
	v_mov_b32_e32 v4, v5
	;; [unrolled: 1-line block ×4, first 2 shown]
	v_cvt_f16_f32_e32 v3, v3
	v_cvt_f16_f32_e32 v4, v4
	;; [unrolled: 1-line block ×4, first 2 shown]
	s_waitcnt lgkmcnt(0)
	s_barrier
	ds_write_b16 v1, v3
	ds_write_b16 v1, v4 offset:64
	ds_write_b16 v1, v5 offset:128
	ds_write_b16 v1, v6 offset:192
	s_waitcnt lgkmcnt(0)
	s_barrier
	ds_read_b64 v[4:5], v2
	v_add_u32_e32 v3, 0xe0, v0
	v_lshlrev_b32_e32 v6, 1, v3
	v_accvgpr_read_b32 v7, a159
	v_cvt_f16_f32_e32 v7, v7
	s_waitcnt lgkmcnt(0)
	buffer_store_dwordx2 v[4:5], v6, s[0:3], 0 offen
	v_accvgpr_read_b32 v4, a156
	v_accvgpr_read_b32 v5, a157
	;; [unrolled: 1-line block ×3, first 2 shown]
	v_cvt_f16_f32_e32 v4, v4
	v_cvt_f16_f32_e32 v5, v5
	;; [unrolled: 1-line block ×3, first 2 shown]
	s_waitcnt lgkmcnt(0)
	s_barrier
	ds_write_b16 v1, v4
	ds_write_b16 v1, v5 offset:64
	ds_write_b16 v1, v6 offset:128
	;; [unrolled: 1-line block ×3, first 2 shown]
	s_waitcnt lgkmcnt(0)
	s_barrier
	ds_read_b64 v[4:5], v2
	v_add_lshl_u32 v3, v3, s4, 1
	v_accvgpr_read_b32 v6, a154
	v_accvgpr_read_b32 v7, a155
	v_cvt_f16_f32_e32 v6, v6
	s_waitcnt lgkmcnt(0)
	buffer_store_dwordx2 v[4:5], v3, s[0:3], 0 offen
	v_accvgpr_read_b32 v4, a152
	v_accvgpr_read_b32 v5, a153
	v_cvt_f16_f32_e32 v4, v4
	v_cvt_f16_f32_e32 v5, v5
	;; [unrolled: 1-line block ×3, first 2 shown]
	s_waitcnt lgkmcnt(0)
	s_barrier
	ds_write_b16 v1, v4
	ds_write_b16 v1, v5 offset:64
	ds_write_b16 v1, v6 offset:128
	;; [unrolled: 1-line block ×3, first 2 shown]
	s_waitcnt lgkmcnt(0)
	s_barrier
	ds_read_b64 v[4:5], v2
	v_subrev_u32_e32 v6, 64, v3
	v_accvgpr_read_b32 v7, a151
	v_cvt_f16_f32_e32 v7, v7
	v_add_u32_e32 v0, s4, v0
	s_waitcnt lgkmcnt(0)
	buffer_store_dwordx2 v[4:5], v6, s[0:3], 0 offen
	v_accvgpr_read_b32 v4, a148
	v_accvgpr_read_b32 v5, a149
	v_accvgpr_read_b32 v6, a150
	v_cvt_f16_f32_e32 v4, v4
	v_cvt_f16_f32_e32 v5, v5
	v_cvt_f16_f32_e32 v6, v6
	s_waitcnt lgkmcnt(0)
	s_barrier
	ds_write_b16 v1, v4
	ds_write_b16 v1, v5 offset:64
	ds_write_b16 v1, v6 offset:128
	ds_write_b16 v1, v7 offset:192
	s_waitcnt lgkmcnt(0)
	s_barrier
	ds_read_b64 v[4:5], v2
	v_add_u32_e32 v6, 0xffffff80, v3
	v_accvgpr_read_b32 v7, a147
	v_cvt_f16_f32_e32 v7, v7
	s_waitcnt lgkmcnt(0)
	buffer_store_dwordx2 v[4:5], v6, s[0:3], 0 offen
	v_accvgpr_read_b32 v4, a144
	v_accvgpr_read_b32 v5, a145
	v_accvgpr_read_b32 v6, a146
	v_cvt_f16_f32_e32 v4, v4
	v_cvt_f16_f32_e32 v5, v5
	v_cvt_f16_f32_e32 v6, v6
	s_waitcnt lgkmcnt(0)
	s_barrier
	ds_write_b16 v1, v4
	ds_write_b16 v1, v5 offset:64
	ds_write_b16 v1, v6 offset:128
	ds_write_b16 v1, v7 offset:192
	s_waitcnt lgkmcnt(0)
	s_barrier
	ds_read_b64 v[4:5], v2
	v_add_u32_e32 v6, 0xffffff40, v3
	v_accvgpr_read_b32 v7, a163
	v_cvt_f16_f32_e32 v7, v7
	;; [unrolled: 20-line block ×3, first 2 shown]
	s_waitcnt lgkmcnt(0)
	buffer_store_dwordx2 v[4:5], v6, s[0:3], 0 offen
	v_accvgpr_read_b32 v4, a248
	v_accvgpr_read_b32 v5, a249
	;; [unrolled: 1-line block ×3, first 2 shown]
	v_cvt_f16_f32_e32 v4, v4
	v_cvt_f16_f32_e32 v5, v5
	;; [unrolled: 1-line block ×3, first 2 shown]
	s_waitcnt lgkmcnt(0)
	s_barrier
	ds_write_b16 v1, v4
	ds_write_b16 v1, v5 offset:64
	ds_write_b16 v1, v6 offset:128
	;; [unrolled: 1-line block ×3, first 2 shown]
	s_waitcnt lgkmcnt(0)
	s_barrier
	ds_read_b64 v[4:5], v2
	v_add_u32_e32 v6, 0xfffffec0, v3
	v_add_u32_e32 v3, 0xfffffe80, v3
	s_waitcnt lgkmcnt(0)
	buffer_store_dwordx2 v[4:5], v6, s[0:3], 0 offen
	v_pk_mov_b32 v[4:5], v[30:31], v[30:31] op_sel:[0,1]
	v_pk_mov_b32 v[6:7], v[32:33], v[32:33] op_sel:[0,1]
	v_cvt_f16_f32_e32 v4, v4
	v_cvt_f16_f32_e32 v5, v5
	v_cvt_f16_f32_e32 v6, v6
	v_cvt_f16_f32_e32 v7, v7
	s_waitcnt lgkmcnt(0)
	s_barrier
	ds_write_b16 v1, v4
	ds_write_b16 v1, v5 offset:64
	ds_write_b16 v1, v6 offset:128
	;; [unrolled: 1-line block ×3, first 2 shown]
	s_waitcnt lgkmcnt(0)
	s_barrier
	ds_read_b64 v[4:5], v2
	s_waitcnt lgkmcnt(0)
	buffer_store_dwordx2 v[4:5], v3, s[0:3], 0 offen
	v_pk_mov_b32 v[4:5], v[26:27], v[26:27] op_sel:[0,1]
	v_pk_mov_b32 v[6:7], v[28:29], v[28:29] op_sel:[0,1]
	v_mov_b32_e32 v3, v4
	v_mov_b32_e32 v4, v5
	;; [unrolled: 1-line block ×4, first 2 shown]
	v_cvt_f16_f32_e32 v3, v3
	v_cvt_f16_f32_e32 v4, v4
	;; [unrolled: 1-line block ×4, first 2 shown]
	s_waitcnt lgkmcnt(0)
	s_barrier
	ds_write_b16 v1, v3
	ds_write_b16 v1, v4 offset:64
	ds_write_b16 v1, v5 offset:128
	ds_write_b16 v1, v6 offset:192
	s_waitcnt lgkmcnt(0)
	s_barrier
	ds_read_b64 v[4:5], v2
	v_lshlrev_b32_e32 v3, 1, v0
	v_accvgpr_read_b32 v6, a131
	v_cvt_f16_f32_e32 v6, v6
	v_add_u32_e32 v0, s4, v0
	s_waitcnt lgkmcnt(0)
	buffer_store_dwordx2 v[4:5], v3, s[0:3], 0 offen
	v_accvgpr_read_b32 v3, a128
	v_accvgpr_read_b32 v4, a129
	;; [unrolled: 1-line block ×3, first 2 shown]
	v_cvt_f16_f32_e32 v3, v3
	v_cvt_f16_f32_e32 v4, v4
	;; [unrolled: 1-line block ×3, first 2 shown]
	s_waitcnt lgkmcnt(0)
	s_barrier
	ds_write_b16 v1, v3
	ds_write_b16 v1, v4 offset:64
	ds_write_b16 v1, v5 offset:128
	;; [unrolled: 1-line block ×3, first 2 shown]
	s_waitcnt lgkmcnt(0)
	s_barrier
	ds_read_b64 v[4:5], v2
	v_lshlrev_b32_e32 v3, 1, v0
	v_accvgpr_read_b32 v6, a134
	v_accvgpr_read_b32 v7, a135
	v_cvt_f16_f32_e32 v6, v6
	s_waitcnt lgkmcnt(0)
	buffer_store_dwordx2 v[4:5], v3, s[0:3], 0 offen
	v_accvgpr_read_b32 v4, a132
	v_accvgpr_read_b32 v5, a133
	v_cvt_f16_f32_e32 v4, v4
	v_cvt_f16_f32_e32 v5, v5
	;; [unrolled: 1-line block ×3, first 2 shown]
	s_waitcnt lgkmcnt(0)
	s_barrier
	ds_write_b16 v1, v4
	ds_write_b16 v1, v5 offset:64
	ds_write_b16 v1, v6 offset:128
	ds_write_b16 v1, v7 offset:192
	s_waitcnt lgkmcnt(0)
	s_barrier
	ds_read_b64 v[4:5], v2
	v_accvgpr_read_b32 v6, a246
	v_accvgpr_read_b32 v7, a247
	v_cvt_f16_f32_e32 v6, v6
	v_cvt_f16_f32_e32 v7, v7
	s_waitcnt lgkmcnt(0)
	buffer_store_dwordx2 v[4:5], v3, s[0:3], 0 offen offset:64
	v_accvgpr_read_b32 v4, a244
	v_accvgpr_read_b32 v5, a245
	v_cvt_f16_f32_e32 v4, v4
	v_cvt_f16_f32_e32 v5, v5
	s_waitcnt lgkmcnt(0)
	s_barrier
	ds_write_b16 v1, v4
	ds_write_b16 v1, v5 offset:64
	ds_write_b16 v1, v6 offset:128
	ds_write_b16 v1, v7 offset:192
	s_waitcnt lgkmcnt(0)
	s_barrier
	ds_read_b64 v[4:5], v2
	v_accvgpr_read_b32 v6, a138
	v_accvgpr_read_b32 v7, a139
	v_cvt_f16_f32_e32 v6, v6
	v_cvt_f16_f32_e32 v7, v7
	s_waitcnt lgkmcnt(0)
	buffer_store_dwordx2 v[4:5], v3, s[0:3], 0 offen offset:128
	v_accvgpr_read_b32 v4, a136
	v_accvgpr_read_b32 v5, a137
	v_cvt_f16_f32_e32 v4, v4
	v_cvt_f16_f32_e32 v5, v5
	;; [unrolled: 19-line block ×5, first 2 shown]
	s_waitcnt lgkmcnt(0)
	s_barrier
	ds_write_b16 v1, v4
	ds_write_b16 v1, v5 offset:64
	ds_write_b16 v1, v6 offset:128
	;; [unrolled: 1-line block ×3, first 2 shown]
	s_waitcnt lgkmcnt(0)
	s_barrier
	ds_read_b64 v[4:5], v2
	v_accvgpr_read_b32 v6, a123
	v_cvt_f16_f32_e32 v6, v6
	v_accvgpr_read_b32 v7, a95
	v_cvt_f16_f32_e32 v7, v7
	s_waitcnt lgkmcnt(0)
	buffer_store_dwordx2 v[4:5], v3, s[0:3], 0 offen offset:384
	v_accvgpr_read_b32 v3, a120
	v_accvgpr_read_b32 v4, a121
	;; [unrolled: 1-line block ×3, first 2 shown]
	v_cvt_f16_f32_e32 v3, v3
	v_cvt_f16_f32_e32 v4, v4
	;; [unrolled: 1-line block ×3, first 2 shown]
	s_waitcnt lgkmcnt(0)
	s_barrier
	ds_write_b16 v1, v3
	ds_write_b16 v1, v4 offset:64
	ds_write_b16 v1, v5 offset:128
	;; [unrolled: 1-line block ×3, first 2 shown]
	s_waitcnt lgkmcnt(0)
	s_barrier
	ds_read_b64 v[4:5], v2
	v_add_u32_e32 v3, 0xe0, v0
	v_lshlrev_b32_e32 v6, 1, v3
	v_add_lshl_u32 v3, v3, s4, 1
	v_add_u32_e32 v0, s4, v0
	s_waitcnt lgkmcnt(0)
	buffer_store_dwordx2 v[4:5], v6, s[0:3], 0 offen
	v_accvgpr_read_b32 v4, a92
	v_accvgpr_read_b32 v5, a93
	;; [unrolled: 1-line block ×3, first 2 shown]
	v_cvt_f16_f32_e32 v4, v4
	v_cvt_f16_f32_e32 v5, v5
	;; [unrolled: 1-line block ×3, first 2 shown]
	s_waitcnt lgkmcnt(0)
	s_barrier
	ds_write_b16 v1, v4
	ds_write_b16 v1, v5 offset:64
	ds_write_b16 v1, v6 offset:128
	ds_write_b16 v1, v7 offset:192
	s_waitcnt lgkmcnt(0)
	s_barrier
	ds_read_b64 v[4:5], v2
	v_accvgpr_read_b32 v6, a90
	v_accvgpr_read_b32 v7, a91
	v_cvt_f16_f32_e32 v6, v6
	v_cvt_f16_f32_e32 v7, v7
	s_waitcnt lgkmcnt(0)
	buffer_store_dwordx2 v[4:5], v3, s[0:3], 0 offen
	v_accvgpr_read_b32 v4, a88
	v_accvgpr_read_b32 v5, a89
	v_cvt_f16_f32_e32 v4, v4
	v_cvt_f16_f32_e32 v5, v5
	s_waitcnt lgkmcnt(0)
	s_barrier
	ds_write_b16 v1, v4
	ds_write_b16 v1, v5 offset:64
	ds_write_b16 v1, v6 offset:128
	;; [unrolled: 1-line block ×3, first 2 shown]
	s_waitcnt lgkmcnt(0)
	s_barrier
	ds_read_b64 v[4:5], v2
	v_subrev_u32_e32 v6, 64, v3
	v_accvgpr_read_b32 v7, a87
	v_cvt_f16_f32_e32 v7, v7
	s_waitcnt lgkmcnt(0)
	buffer_store_dwordx2 v[4:5], v6, s[0:3], 0 offen
	v_accvgpr_read_b32 v4, a84
	v_accvgpr_read_b32 v5, a85
	v_accvgpr_read_b32 v6, a86
	v_cvt_f16_f32_e32 v4, v4
	v_cvt_f16_f32_e32 v5, v5
	v_cvt_f16_f32_e32 v6, v6
	s_waitcnt lgkmcnt(0)
	s_barrier
	ds_write_b16 v1, v4
	ds_write_b16 v1, v5 offset:64
	ds_write_b16 v1, v6 offset:128
	ds_write_b16 v1, v7 offset:192
	s_waitcnt lgkmcnt(0)
	s_barrier
	ds_read_b64 v[4:5], v2
	v_add_u32_e32 v6, 0xffffff80, v3
	v_accvgpr_read_b32 v7, a127
	v_cvt_f16_f32_e32 v7, v7
	s_waitcnt lgkmcnt(0)
	buffer_store_dwordx2 v[4:5], v6, s[0:3], 0 offen
	v_accvgpr_read_b32 v4, a124
	v_accvgpr_read_b32 v5, a125
	v_accvgpr_read_b32 v6, a126
	v_cvt_f16_f32_e32 v4, v4
	v_cvt_f16_f32_e32 v5, v5
	v_cvt_f16_f32_e32 v6, v6
	s_waitcnt lgkmcnt(0)
	s_barrier
	ds_write_b16 v1, v4
	ds_write_b16 v1, v5 offset:64
	ds_write_b16 v1, v6 offset:128
	ds_write_b16 v1, v7 offset:192
	s_waitcnt lgkmcnt(0)
	s_barrier
	ds_read_b64 v[4:5], v2
	v_add_u32_e32 v6, 0xffffff40, v3
	;; [unrolled: 20-line block ×3, first 2 shown]
	s_waitcnt lgkmcnt(0)
	buffer_store_dwordx2 v[4:5], v6, s[0:3], 0 offen
	v_pk_mov_b32 v[4:5], v[8:9], v[8:9] op_sel:[0,1]
	v_pk_mov_b32 v[6:7], v[10:11], v[10:11] op_sel:[0,1]
	v_cvt_f16_f32_e32 v4, v4
	v_cvt_f16_f32_e32 v5, v5
	;; [unrolled: 1-line block ×4, first 2 shown]
	s_waitcnt lgkmcnt(0)
	s_barrier
	ds_write_b16 v1, v4
	ds_write_b16 v1, v5 offset:64
	ds_write_b16 v1, v6 offset:128
	;; [unrolled: 1-line block ×3, first 2 shown]
	s_waitcnt lgkmcnt(0)
	s_barrier
	ds_read_b64 v[4:5], v2
	v_add_u32_e32 v6, 0xfffffec0, v3
	v_accvgpr_read_b32 v7, a171
	v_cvt_f16_f32_e32 v7, v7
	v_add_u32_e32 v3, 0xfffffe80, v3
	s_waitcnt lgkmcnt(0)
	buffer_store_dwordx2 v[4:5], v6, s[0:3], 0 offen
	v_accvgpr_read_b32 v4, a168
	v_accvgpr_read_b32 v5, a169
	v_accvgpr_read_b32 v6, a170
	v_cvt_f16_f32_e32 v4, v4
	v_cvt_f16_f32_e32 v5, v5
	;; [unrolled: 1-line block ×3, first 2 shown]
	s_waitcnt lgkmcnt(0)
	s_barrier
	ds_write_b16 v1, v4
	ds_write_b16 v1, v5 offset:64
	ds_write_b16 v1, v6 offset:128
	;; [unrolled: 1-line block ×3, first 2 shown]
	s_waitcnt lgkmcnt(0)
	s_barrier
	ds_read_b64 v[4:5], v2
	v_accvgpr_read_b32 v6, a143
	v_cvt_f16_f32_e32 v6, v6
	v_accvgpr_read_b32 v7, a107
	v_cvt_f16_f32_e32 v7, v7
	s_waitcnt lgkmcnt(0)
	buffer_store_dwordx2 v[4:5], v3, s[0:3], 0 offen
	v_accvgpr_read_b32 v3, a140
	v_accvgpr_read_b32 v4, a141
	;; [unrolled: 1-line block ×3, first 2 shown]
	v_cvt_f16_f32_e32 v3, v3
	v_cvt_f16_f32_e32 v4, v4
	;; [unrolled: 1-line block ×3, first 2 shown]
	s_waitcnt lgkmcnt(0)
	s_barrier
	ds_write_b16 v1, v3
	ds_write_b16 v1, v4 offset:64
	ds_write_b16 v1, v5 offset:128
	;; [unrolled: 1-line block ×3, first 2 shown]
	s_waitcnt lgkmcnt(0)
	s_barrier
	ds_read_b64 v[4:5], v2
	v_lshlrev_b32_e32 v3, 1, v0
	v_accvgpr_read_b32 v6, a99
	v_cvt_f16_f32_e32 v6, v6
	s_waitcnt lgkmcnt(0)
	buffer_store_dwordx2 v[4:5], v3, s[0:3], 0 offen
	v_accvgpr_read_b32 v3, a96
	v_accvgpr_read_b32 v4, a97
	;; [unrolled: 1-line block ×3, first 2 shown]
	v_cvt_f16_f32_e32 v3, v3
	v_cvt_f16_f32_e32 v4, v4
	;; [unrolled: 1-line block ×3, first 2 shown]
	s_waitcnt lgkmcnt(0)
	s_barrier
	ds_write_b16 v1, v3
	ds_write_b16 v1, v4 offset:64
	ds_write_b16 v1, v5 offset:128
	ds_write_b16 v1, v6 offset:192
	s_waitcnt lgkmcnt(0)
	s_barrier
	ds_read_b64 v[4:5], v2
	v_add_u32_e32 v3, s4, v0
	v_lshlrev_b32_e32 v0, 1, v3
	v_accvgpr_read_b32 v6, a106
	v_cvt_f16_f32_e32 v6, v6
	s_waitcnt lgkmcnt(0)
	buffer_store_dwordx2 v[4:5], v0, s[0:3], 0 offen
	v_accvgpr_read_b32 v4, a104
	v_accvgpr_read_b32 v5, a105
	v_cvt_f16_f32_e32 v4, v4
	v_cvt_f16_f32_e32 v5, v5
	s_waitcnt lgkmcnt(0)
	s_barrier
	ds_write_b16 v1, v4
	ds_write_b16 v1, v5 offset:64
	ds_write_b16 v1, v6 offset:128
	ds_write_b16 v1, v7 offset:192
	s_waitcnt lgkmcnt(0)
	s_barrier
	ds_read_b64 v[4:5], v2
	v_accvgpr_read_b32 v6, a70
	v_accvgpr_read_b32 v7, a71
	v_cvt_f16_f32_e32 v6, v6
	v_cvt_f16_f32_e32 v7, v7
	s_waitcnt lgkmcnt(0)
	buffer_store_dwordx2 v[4:5], v0, s[0:3], 0 offen offset:64
	v_accvgpr_read_b32 v4, a68
	v_accvgpr_read_b32 v5, a69
	v_cvt_f16_f32_e32 v4, v4
	v_cvt_f16_f32_e32 v5, v5
	s_waitcnt lgkmcnt(0)
	s_barrier
	ds_write_b16 v1, v4
	ds_write_b16 v1, v5 offset:64
	ds_write_b16 v1, v6 offset:128
	ds_write_b16 v1, v7 offset:192
	s_waitcnt lgkmcnt(0)
	s_barrier
	ds_read_b64 v[4:5], v2
	v_accvgpr_read_b32 v6, a66
	v_accvgpr_read_b32 v7, a67
	v_cvt_f16_f32_e32 v6, v6
	v_cvt_f16_f32_e32 v7, v7
	s_waitcnt lgkmcnt(0)
	buffer_store_dwordx2 v[4:5], v0, s[0:3], 0 offen offset:128
	;; [unrolled: 19-line block ×5, first 2 shown]
	v_accvgpr_read_b32 v4, a72
	v_accvgpr_read_b32 v5, a73
	v_cvt_f16_f32_e32 v4, v4
	v_cvt_f16_f32_e32 v5, v5
	s_waitcnt lgkmcnt(0)
	s_barrier
	ds_write_b16 v1, v4
	ds_write_b16 v1, v5 offset:64
	ds_write_b16 v1, v6 offset:128
	;; [unrolled: 1-line block ×3, first 2 shown]
	s_waitcnt lgkmcnt(0)
	s_barrier
	ds_read_b64 v[4:5], v2
	v_accvgpr_read_b32 v6, a59
	v_cvt_f16_f32_e32 v6, v6
	v_accvgpr_read_b32 v7, a31
	v_cvt_f16_f32_e32 v7, v7
	s_waitcnt lgkmcnt(0)
	buffer_store_dwordx2 v[4:5], v0, s[0:3], 0 offen offset:384
	v_accvgpr_read_b32 v0, a56
	v_accvgpr_read_b32 v4, a57
	;; [unrolled: 1-line block ×3, first 2 shown]
	v_cvt_f16_f32_e32 v0, v0
	v_cvt_f16_f32_e32 v4, v4
	;; [unrolled: 1-line block ×3, first 2 shown]
	s_waitcnt lgkmcnt(0)
	s_barrier
	ds_write_b16 v1, v0
	ds_write_b16 v1, v4 offset:64
	ds_write_b16 v1, v5 offset:128
	;; [unrolled: 1-line block ×3, first 2 shown]
	s_waitcnt lgkmcnt(0)
	s_barrier
	ds_read_b64 v[4:5], v2
	v_add_u32_e32 v0, 0xe0, v3
	v_lshlrev_b32_e32 v6, 1, v0
	v_add_lshl_u32 v0, v0, s4, 1
	s_waitcnt lgkmcnt(0)
	buffer_store_dwordx2 v[4:5], v6, s[0:3], 0 offen
	v_accvgpr_read_b32 v4, a28
	v_accvgpr_read_b32 v5, a29
	;; [unrolled: 1-line block ×3, first 2 shown]
	v_cvt_f16_f32_e32 v4, v4
	v_cvt_f16_f32_e32 v5, v5
	;; [unrolled: 1-line block ×3, first 2 shown]
	s_waitcnt lgkmcnt(0)
	s_barrier
	ds_write_b16 v1, v4
	ds_write_b16 v1, v5 offset:64
	ds_write_b16 v1, v6 offset:128
	;; [unrolled: 1-line block ×3, first 2 shown]
	s_waitcnt lgkmcnt(0)
	s_barrier
	ds_read_b64 v[4:5], v2
	v_accvgpr_read_b32 v6, a26
	v_accvgpr_read_b32 v7, a27
	v_cvt_f16_f32_e32 v6, v6
	v_cvt_f16_f32_e32 v7, v7
	s_waitcnt lgkmcnt(0)
	buffer_store_dwordx2 v[4:5], v0, s[0:3], 0 offen
	v_accvgpr_read_b32 v4, a24
	v_accvgpr_read_b32 v5, a25
	v_cvt_f16_f32_e32 v4, v4
	v_cvt_f16_f32_e32 v5, v5
	s_waitcnt lgkmcnt(0)
	s_barrier
	ds_write_b16 v1, v4
	ds_write_b16 v1, v5 offset:64
	ds_write_b16 v1, v6 offset:128
	;; [unrolled: 1-line block ×3, first 2 shown]
	s_waitcnt lgkmcnt(0)
	s_barrier
	ds_read_b64 v[4:5], v2
	v_subrev_u32_e32 v6, 64, v0
	v_accvgpr_read_b32 v7, a47
	v_cvt_f16_f32_e32 v7, v7
	s_waitcnt lgkmcnt(0)
	buffer_store_dwordx2 v[4:5], v6, s[0:3], 0 offen
	v_accvgpr_read_b32 v4, a44
	v_accvgpr_read_b32 v5, a45
	v_accvgpr_read_b32 v6, a46
	v_cvt_f16_f32_e32 v4, v4
	v_cvt_f16_f32_e32 v5, v5
	v_cvt_f16_f32_e32 v6, v6
	s_waitcnt lgkmcnt(0)
	s_barrier
	ds_write_b16 v1, v4
	ds_write_b16 v1, v5 offset:64
	ds_write_b16 v1, v6 offset:128
	ds_write_b16 v1, v7 offset:192
	s_waitcnt lgkmcnt(0)
	s_barrier
	ds_read_b64 v[4:5], v2
	v_add_u32_e32 v6, 0xffffff80, v0
	v_accvgpr_read_b32 v7, a43
	v_cvt_f16_f32_e32 v7, v7
	s_waitcnt lgkmcnt(0)
	buffer_store_dwordx2 v[4:5], v6, s[0:3], 0 offen
	v_accvgpr_read_b32 v4, a40
	v_accvgpr_read_b32 v5, a41
	v_accvgpr_read_b32 v6, a42
	v_cvt_f16_f32_e32 v4, v4
	v_cvt_f16_f32_e32 v5, v5
	v_cvt_f16_f32_e32 v6, v6
	s_waitcnt lgkmcnt(0)
	s_barrier
	ds_write_b16 v1, v4
	ds_write_b16 v1, v5 offset:64
	ds_write_b16 v1, v6 offset:128
	ds_write_b16 v1, v7 offset:192
	s_waitcnt lgkmcnt(0)
	s_barrier
	ds_read_b64 v[4:5], v2
	v_add_u32_e32 v6, 0xffffff40, v0
	;; [unrolled: 20-line block ×4, first 2 shown]
	v_accvgpr_read_b32 v7, a55
	v_cvt_f16_f32_e32 v7, v7
	v_add_u32_e32 v0, 0xfffffe80, v0
	s_waitcnt lgkmcnt(0)
	buffer_store_dwordx2 v[4:5], v6, s[0:3], 0 offen
	v_accvgpr_read_b32 v4, a52
	v_accvgpr_read_b32 v5, a53
	;; [unrolled: 1-line block ×3, first 2 shown]
	v_cvt_f16_f32_e32 v4, v4
	v_cvt_f16_f32_e32 v5, v5
	;; [unrolled: 1-line block ×3, first 2 shown]
	s_waitcnt lgkmcnt(0)
	s_barrier
	ds_write_b16 v1, v4
	ds_write_b16 v1, v5 offset:64
	ds_write_b16 v1, v6 offset:128
	;; [unrolled: 1-line block ×3, first 2 shown]
	s_waitcnt lgkmcnt(0)
	s_barrier
	ds_read_b64 v[4:5], v2
	v_accvgpr_read_b32 v6, a63
	v_cvt_f16_f32_e32 v6, v6
	s_waitcnt lgkmcnt(0)
	buffer_store_dwordx2 v[4:5], v0, s[0:3], 0 offen
	v_accvgpr_read_b32 v0, a60
	v_accvgpr_read_b32 v4, a61
	;; [unrolled: 1-line block ×3, first 2 shown]
	v_cvt_f16_f32_e32 v0, v0
	v_cvt_f16_f32_e32 v4, v4
	;; [unrolled: 1-line block ×3, first 2 shown]
	s_waitcnt lgkmcnt(0)
	s_barrier
	ds_write_b16 v1, v0
	ds_write_b16 v1, v4 offset:64
	ds_write_b16 v1, v5 offset:128
	;; [unrolled: 1-line block ×3, first 2 shown]
	s_waitcnt lgkmcnt(0)
	s_barrier
	ds_read_b64 v[0:1], v2
	v_add_lshl_u32 v2, v3, s4, 1
	s_waitcnt lgkmcnt(0)
	buffer_store_dwordx2 v[0:1], v2, s[0:3], 0 offen
	s_endpgm
	.section	.rodata,"a",@progbits
	.p2align	6, 0x0
	.amdhsa_kernel _ZN2ck27kernel_gemm_xdl_cshuffle_v2INS_28GridwiseGemm_xdl_cshuffle_v2INS_13tensor_layout4gemm8RowMajorES4_S4_DF16_DF16_fDF16_DF16_NS_16tensor_operation12element_wise11PassThroughES7_S7_LNS5_6device18GemmSpecializationE0ELNS_25InMemoryDataOperationEnumE0ELi2ELi256ELi256ELi256ELi32ELi8ELi4ELi16ELi16ELi8ELi8ENS_8SequenceIJLi4ELi64ELi1EEEENSB_IJLi1ELi0ELi2EEEESD_Li2ELi8ELi8ELb0ELi0ENSB_IJLi8ELi32ELi1EEEENSB_IJLi0ELi2ELi1EEEESF_Li1ELi8ELi4ELb0ELi0ELi1ELi1ENSB_IJLi1ELi32ELi1ELi8EEEELi4ELNS_13LoopSchedulerE0ELNS_15PipelineVersionE0EDF16_DF16_EELb1ELi3EEEvNT_8ArgumentE
		.amdhsa_group_segment_fixed_size 65536
		.amdhsa_private_segment_fixed_size 0
		.amdhsa_kernarg_size 96
		.amdhsa_user_sgpr_count 6
		.amdhsa_user_sgpr_private_segment_buffer 1
		.amdhsa_user_sgpr_dispatch_ptr 0
		.amdhsa_user_sgpr_queue_ptr 0
		.amdhsa_user_sgpr_kernarg_segment_ptr 1
		.amdhsa_user_sgpr_dispatch_id 0
		.amdhsa_user_sgpr_flat_scratch_init 0
		.amdhsa_user_sgpr_kernarg_preload_length 0
		.amdhsa_user_sgpr_kernarg_preload_offset 0
		.amdhsa_user_sgpr_private_segment_size 0
		.amdhsa_uses_dynamic_stack 0
		.amdhsa_system_sgpr_private_segment_wavefront_offset 0
		.amdhsa_system_sgpr_workgroup_id_x 1
		.amdhsa_system_sgpr_workgroup_id_y 0
		.amdhsa_system_sgpr_workgroup_id_z 0
		.amdhsa_system_sgpr_workgroup_info 0
		.amdhsa_system_vgpr_workitem_id 0
		.amdhsa_next_free_vgpr 440
		.amdhsa_next_free_sgpr 27
		.amdhsa_accum_offset 184
		.amdhsa_reserve_vcc 0
		.amdhsa_reserve_flat_scratch 0
		.amdhsa_float_round_mode_32 0
		.amdhsa_float_round_mode_16_64 0
		.amdhsa_float_denorm_mode_32 3
		.amdhsa_float_denorm_mode_16_64 3
		.amdhsa_dx10_clamp 1
		.amdhsa_ieee_mode 1
		.amdhsa_fp16_overflow 0
		.amdhsa_tg_split 0
		.amdhsa_exception_fp_ieee_invalid_op 0
		.amdhsa_exception_fp_denorm_src 0
		.amdhsa_exception_fp_ieee_div_zero 0
		.amdhsa_exception_fp_ieee_overflow 0
		.amdhsa_exception_fp_ieee_underflow 0
		.amdhsa_exception_fp_ieee_inexact 0
		.amdhsa_exception_int_div_zero 0
	.end_amdhsa_kernel
	.section	.text._ZN2ck27kernel_gemm_xdl_cshuffle_v2INS_28GridwiseGemm_xdl_cshuffle_v2INS_13tensor_layout4gemm8RowMajorES4_S4_DF16_DF16_fDF16_DF16_NS_16tensor_operation12element_wise11PassThroughES7_S7_LNS5_6device18GemmSpecializationE0ELNS_25InMemoryDataOperationEnumE0ELi2ELi256ELi256ELi256ELi32ELi8ELi4ELi16ELi16ELi8ELi8ENS_8SequenceIJLi4ELi64ELi1EEEENSB_IJLi1ELi0ELi2EEEESD_Li2ELi8ELi8ELb0ELi0ENSB_IJLi8ELi32ELi1EEEENSB_IJLi0ELi2ELi1EEEESF_Li1ELi8ELi4ELb0ELi0ELi1ELi1ENSB_IJLi1ELi32ELi1ELi8EEEELi4ELNS_13LoopSchedulerE0ELNS_15PipelineVersionE0EDF16_DF16_EELb1ELi3EEEvNT_8ArgumentE,"axG",@progbits,_ZN2ck27kernel_gemm_xdl_cshuffle_v2INS_28GridwiseGemm_xdl_cshuffle_v2INS_13tensor_layout4gemm8RowMajorES4_S4_DF16_DF16_fDF16_DF16_NS_16tensor_operation12element_wise11PassThroughES7_S7_LNS5_6device18GemmSpecializationE0ELNS_25InMemoryDataOperationEnumE0ELi2ELi256ELi256ELi256ELi32ELi8ELi4ELi16ELi16ELi8ELi8ENS_8SequenceIJLi4ELi64ELi1EEEENSB_IJLi1ELi0ELi2EEEESD_Li2ELi8ELi8ELb0ELi0ENSB_IJLi8ELi32ELi1EEEENSB_IJLi0ELi2ELi1EEEESF_Li1ELi8ELi4ELb0ELi0ELi1ELi1ENSB_IJLi1ELi32ELi1ELi8EEEELi4ELNS_13LoopSchedulerE0ELNS_15PipelineVersionE0EDF16_DF16_EELb1ELi3EEEvNT_8ArgumentE,comdat
.Lfunc_end1:
	.size	_ZN2ck27kernel_gemm_xdl_cshuffle_v2INS_28GridwiseGemm_xdl_cshuffle_v2INS_13tensor_layout4gemm8RowMajorES4_S4_DF16_DF16_fDF16_DF16_NS_16tensor_operation12element_wise11PassThroughES7_S7_LNS5_6device18GemmSpecializationE0ELNS_25InMemoryDataOperationEnumE0ELi2ELi256ELi256ELi256ELi32ELi8ELi4ELi16ELi16ELi8ELi8ENS_8SequenceIJLi4ELi64ELi1EEEENSB_IJLi1ELi0ELi2EEEESD_Li2ELi8ELi8ELb0ELi0ENSB_IJLi8ELi32ELi1EEEENSB_IJLi0ELi2ELi1EEEESF_Li1ELi8ELi4ELb0ELi0ELi1ELi1ENSB_IJLi1ELi32ELi1ELi8EEEELi4ELNS_13LoopSchedulerE0ELNS_15PipelineVersionE0EDF16_DF16_EELb1ELi3EEEvNT_8ArgumentE, .Lfunc_end1-_ZN2ck27kernel_gemm_xdl_cshuffle_v2INS_28GridwiseGemm_xdl_cshuffle_v2INS_13tensor_layout4gemm8RowMajorES4_S4_DF16_DF16_fDF16_DF16_NS_16tensor_operation12element_wise11PassThroughES7_S7_LNS5_6device18GemmSpecializationE0ELNS_25InMemoryDataOperationEnumE0ELi2ELi256ELi256ELi256ELi32ELi8ELi4ELi16ELi16ELi8ELi8ENS_8SequenceIJLi4ELi64ELi1EEEENSB_IJLi1ELi0ELi2EEEESD_Li2ELi8ELi8ELb0ELi0ENSB_IJLi8ELi32ELi1EEEENSB_IJLi0ELi2ELi1EEEESF_Li1ELi8ELi4ELb0ELi0ELi1ELi1ENSB_IJLi1ELi32ELi1ELi8EEEELi4ELNS_13LoopSchedulerE0ELNS_15PipelineVersionE0EDF16_DF16_EELb1ELi3EEEvNT_8ArgumentE
                                        ; -- End function
	.section	.AMDGPU.csdata,"",@progbits
; Kernel info:
; codeLenInByte = 23180
; NumSgprs: 31
; NumVgprs: 182
; NumAgprs: 256
; TotalNumVgprs: 440
; ScratchSize: 0
; MemoryBound: 0
; FloatMode: 240
; IeeeMode: 1
; LDSByteSize: 65536 bytes/workgroup (compile time only)
; SGPRBlocks: 3
; VGPRBlocks: 54
; NumSGPRsForWavesPerEU: 31
; NumVGPRsForWavesPerEU: 440
; AccumOffset: 184
; Occupancy: 1
; WaveLimiterHint : 0
; COMPUTE_PGM_RSRC2:SCRATCH_EN: 0
; COMPUTE_PGM_RSRC2:USER_SGPR: 6
; COMPUTE_PGM_RSRC2:TRAP_HANDLER: 0
; COMPUTE_PGM_RSRC2:TGID_X_EN: 1
; COMPUTE_PGM_RSRC2:TGID_Y_EN: 0
; COMPUTE_PGM_RSRC2:TGID_Z_EN: 0
; COMPUTE_PGM_RSRC2:TIDIG_COMP_CNT: 0
; COMPUTE_PGM_RSRC3_GFX90A:ACCUM_OFFSET: 45
; COMPUTE_PGM_RSRC3_GFX90A:TG_SPLIT: 0
	.section	.text._ZN2ck27kernel_gemm_xdl_cshuffle_v2INS_28GridwiseGemm_xdl_cshuffle_v2INS_13tensor_layout4gemm8RowMajorES4_S4_DF16_DF16_fDF16_DF16_NS_16tensor_operation12element_wise11PassThroughES7_S7_LNS5_6device18GemmSpecializationE0ELNS_25InMemoryDataOperationEnumE0ELi2ELi256ELi256ELi256ELi32ELi8ELi4ELi16ELi16ELi8ELi8ENS_8SequenceIJLi4ELi64ELi1EEEENSB_IJLi1ELi0ELi2EEEESD_Li2ELi8ELi8ELb0ELi0ENSB_IJLi8ELi32ELi1EEEENSB_IJLi0ELi2ELi1EEEESF_Li1ELi8ELi4ELb0ELi0ELi1ELi1ENSB_IJLi1ELi32ELi1ELi8EEEELi4ELNS_13LoopSchedulerE0ELNS_15PipelineVersionE0EDF16_DF16_EELb1ELi2EEEvNT_8ArgumentE,"axG",@progbits,_ZN2ck27kernel_gemm_xdl_cshuffle_v2INS_28GridwiseGemm_xdl_cshuffle_v2INS_13tensor_layout4gemm8RowMajorES4_S4_DF16_DF16_fDF16_DF16_NS_16tensor_operation12element_wise11PassThroughES7_S7_LNS5_6device18GemmSpecializationE0ELNS_25InMemoryDataOperationEnumE0ELi2ELi256ELi256ELi256ELi32ELi8ELi4ELi16ELi16ELi8ELi8ENS_8SequenceIJLi4ELi64ELi1EEEENSB_IJLi1ELi0ELi2EEEESD_Li2ELi8ELi8ELb0ELi0ENSB_IJLi8ELi32ELi1EEEENSB_IJLi0ELi2ELi1EEEESF_Li1ELi8ELi4ELb0ELi0ELi1ELi1ENSB_IJLi1ELi32ELi1ELi8EEEELi4ELNS_13LoopSchedulerE0ELNS_15PipelineVersionE0EDF16_DF16_EELb1ELi2EEEvNT_8ArgumentE,comdat
	.protected	_ZN2ck27kernel_gemm_xdl_cshuffle_v2INS_28GridwiseGemm_xdl_cshuffle_v2INS_13tensor_layout4gemm8RowMajorES4_S4_DF16_DF16_fDF16_DF16_NS_16tensor_operation12element_wise11PassThroughES7_S7_LNS5_6device18GemmSpecializationE0ELNS_25InMemoryDataOperationEnumE0ELi2ELi256ELi256ELi256ELi32ELi8ELi4ELi16ELi16ELi8ELi8ENS_8SequenceIJLi4ELi64ELi1EEEENSB_IJLi1ELi0ELi2EEEESD_Li2ELi8ELi8ELb0ELi0ENSB_IJLi8ELi32ELi1EEEENSB_IJLi0ELi2ELi1EEEESF_Li1ELi8ELi4ELb0ELi0ELi1ELi1ENSB_IJLi1ELi32ELi1ELi8EEEELi4ELNS_13LoopSchedulerE0ELNS_15PipelineVersionE0EDF16_DF16_EELb1ELi2EEEvNT_8ArgumentE ; -- Begin function _ZN2ck27kernel_gemm_xdl_cshuffle_v2INS_28GridwiseGemm_xdl_cshuffle_v2INS_13tensor_layout4gemm8RowMajorES4_S4_DF16_DF16_fDF16_DF16_NS_16tensor_operation12element_wise11PassThroughES7_S7_LNS5_6device18GemmSpecializationE0ELNS_25InMemoryDataOperationEnumE0ELi2ELi256ELi256ELi256ELi32ELi8ELi4ELi16ELi16ELi8ELi8ENS_8SequenceIJLi4ELi64ELi1EEEENSB_IJLi1ELi0ELi2EEEESD_Li2ELi8ELi8ELb0ELi0ENSB_IJLi8ELi32ELi1EEEENSB_IJLi0ELi2ELi1EEEESF_Li1ELi8ELi4ELb0ELi0ELi1ELi1ENSB_IJLi1ELi32ELi1ELi8EEEELi4ELNS_13LoopSchedulerE0ELNS_15PipelineVersionE0EDF16_DF16_EELb1ELi2EEEvNT_8ArgumentE
	.globl	_ZN2ck27kernel_gemm_xdl_cshuffle_v2INS_28GridwiseGemm_xdl_cshuffle_v2INS_13tensor_layout4gemm8RowMajorES4_S4_DF16_DF16_fDF16_DF16_NS_16tensor_operation12element_wise11PassThroughES7_S7_LNS5_6device18GemmSpecializationE0ELNS_25InMemoryDataOperationEnumE0ELi2ELi256ELi256ELi256ELi32ELi8ELi4ELi16ELi16ELi8ELi8ENS_8SequenceIJLi4ELi64ELi1EEEENSB_IJLi1ELi0ELi2EEEESD_Li2ELi8ELi8ELb0ELi0ENSB_IJLi8ELi32ELi1EEEENSB_IJLi0ELi2ELi1EEEESF_Li1ELi8ELi4ELb0ELi0ELi1ELi1ENSB_IJLi1ELi32ELi1ELi8EEEELi4ELNS_13LoopSchedulerE0ELNS_15PipelineVersionE0EDF16_DF16_EELb1ELi2EEEvNT_8ArgumentE
	.p2align	8
	.type	_ZN2ck27kernel_gemm_xdl_cshuffle_v2INS_28GridwiseGemm_xdl_cshuffle_v2INS_13tensor_layout4gemm8RowMajorES4_S4_DF16_DF16_fDF16_DF16_NS_16tensor_operation12element_wise11PassThroughES7_S7_LNS5_6device18GemmSpecializationE0ELNS_25InMemoryDataOperationEnumE0ELi2ELi256ELi256ELi256ELi32ELi8ELi4ELi16ELi16ELi8ELi8ENS_8SequenceIJLi4ELi64ELi1EEEENSB_IJLi1ELi0ELi2EEEESD_Li2ELi8ELi8ELb0ELi0ENSB_IJLi8ELi32ELi1EEEENSB_IJLi0ELi2ELi1EEEESF_Li1ELi8ELi4ELb0ELi0ELi1ELi1ENSB_IJLi1ELi32ELi1ELi8EEEELi4ELNS_13LoopSchedulerE0ELNS_15PipelineVersionE0EDF16_DF16_EELb1ELi2EEEvNT_8ArgumentE,@function
_ZN2ck27kernel_gemm_xdl_cshuffle_v2INS_28GridwiseGemm_xdl_cshuffle_v2INS_13tensor_layout4gemm8RowMajorES4_S4_DF16_DF16_fDF16_DF16_NS_16tensor_operation12element_wise11PassThroughES7_S7_LNS5_6device18GemmSpecializationE0ELNS_25InMemoryDataOperationEnumE0ELi2ELi256ELi256ELi256ELi32ELi8ELi4ELi16ELi16ELi8ELi8ENS_8SequenceIJLi4ELi64ELi1EEEENSB_IJLi1ELi0ELi2EEEESD_Li2ELi8ELi8ELb0ELi0ENSB_IJLi8ELi32ELi1EEEENSB_IJLi0ELi2ELi1EEEESF_Li1ELi8ELi4ELb0ELi0ELi1ELi1ENSB_IJLi1ELi32ELi1ELi8EEEELi4ELNS_13LoopSchedulerE0ELNS_15PipelineVersionE0EDF16_DF16_EELb1ELi2EEEvNT_8ArgumentE: ; @_ZN2ck27kernel_gemm_xdl_cshuffle_v2INS_28GridwiseGemm_xdl_cshuffle_v2INS_13tensor_layout4gemm8RowMajorES4_S4_DF16_DF16_fDF16_DF16_NS_16tensor_operation12element_wise11PassThroughES7_S7_LNS5_6device18GemmSpecializationE0ELNS_25InMemoryDataOperationEnumE0ELi2ELi256ELi256ELi256ELi32ELi8ELi4ELi16ELi16ELi8ELi8ENS_8SequenceIJLi4ELi64ELi1EEEENSB_IJLi1ELi0ELi2EEEESD_Li2ELi8ELi8ELb0ELi0ENSB_IJLi8ELi32ELi1EEEENSB_IJLi0ELi2ELi1EEEESF_Li1ELi8ELi4ELb0ELi0ELi1ELi1ENSB_IJLi1ELi32ELi1ELi8EEEELi4ELNS_13LoopSchedulerE0ELNS_15PipelineVersionE0EDF16_DF16_EELb1ELi2EEEvNT_8ArgumentE
; %bb.0:
	s_load_dwordx4 s[8:11], s[4:5], 0x10
	s_load_dwordx2 s[20:21], s[4:5], 0x20
	s_load_dword s7, s[4:5], 0x34
	s_load_dwordx4 s[16:19], s[4:5], 0x48
	s_load_dwordx2 s[0:1], s[4:5], 0x58
	s_waitcnt lgkmcnt(0)
	s_add_i32 s2, s8, -1
	s_cmpk_lt_u32 s2, 0x100
	s_mov_b32 s23, 0
	s_cbranch_scc1 .LBB2_4
; %bb.1:
	s_add_i32 s2, s9, -1
	s_cmpk_lt_u32 s2, 0x100
	s_mov_b32 s3, 0
	s_cbranch_scc1 .LBB2_8
; %bb.2:
	s_add_i32 s2, s8, 0xff
	s_ashr_i32 s3, s2, 31
	s_lshr_b32 s3, s3, 24
	s_add_i32 s2, s2, s3
	s_ashr_i32 s5, s2, 8
	s_add_i32 s2, s9, 0xff
	s_ashr_i32 s3, s2, 31
	s_lshr_b32 s3, s3, 24
	s_add_i32 s2, s2, s3
	s_ashr_i32 s4, s2, 8
	s_mul_i32 s2, s4, s5
	s_add_i32 s3, s2, 7
	s_ashr_i32 s12, s3, 31
	s_lshr_b32 s12, s12, 29
	s_add_i32 s3, s3, s12
	s_ashr_i32 s12, s3, 3
	s_and_b32 s3, s3, -8
	s_sub_i32 s13, s2, s3
	s_ashr_i32 s2, s6, 31
	s_lshr_b32 s2, s2, 29
	s_add_i32 s15, s6, s2
	s_and_b32 s2, s15, -8
	s_add_i32 s13, s13, 8
	s_sub_i32 s14, s6, s2
	s_cmp_gt_i32 s14, s13
	s_cbranch_scc1 .LBB2_5
; %bb.3:
	s_mul_i32 s6, s12, s14
	s_ashr_i32 s2, s15, 3
	s_cbranch_execz .LBB2_6
	s_branch .LBB2_7
.LBB2_4:
	s_mov_b32 s2, 0
	s_branch .LBB2_9
.LBB2_5:
                                        ; implicit-def: $sgpr6
	s_ashr_i32 s2, s15, 3
.LBB2_6:
	s_add_i32 s3, s12, -1
	s_mul_i32 s3, s3, s14
	s_add_i32 s6, s13, s3
.LBB2_7:
	s_abs_i32 s3, s4
	v_cvt_f32_u32_e32 v1, s3
	s_sub_i32 s13, 0, s3
	s_add_i32 s2, s6, s2
	s_abs_i32 s12, s2
	v_rcp_iflag_f32_e32 v1, v1
	s_xor_b32 s6, s2, s4
	s_ashr_i32 s6, s6, 31
	v_mul_f32_e32 v1, 0x4f7ffffe, v1
	v_cvt_u32_f32_e32 v1, v1
	v_readfirstlane_b32 s14, v1
	s_mul_i32 s13, s13, s14
	s_mul_hi_u32 s13, s14, s13
	s_add_i32 s14, s14, s13
	s_mul_hi_u32 s13, s12, s14
	s_mul_i32 s14, s13, s3
	s_sub_i32 s12, s12, s14
	s_add_i32 s15, s13, 1
	s_sub_i32 s14, s12, s3
	s_cmp_ge_u32 s12, s3
	s_cselect_b32 s13, s15, s13
	s_cselect_b32 s12, s14, s12
	s_add_i32 s14, s13, 1
	s_cmp_ge_u32 s12, s3
	s_cselect_b32 s3, s14, s13
	s_xor_b32 s3, s3, s6
	s_lshr_b32 s12, s5, 30
	s_sub_i32 s6, s3, s6
	s_add_i32 s12, s5, s12
	s_mul_i32 s3, s6, s4
	s_sub_i32 s2, s2, s3
	s_and_b32 s3, s12, -4
	s_sub_i32 s5, s5, s3
	s_cmp_ge_i32 s6, s3
	s_cselect_b32 s5, s5, 4
	s_abs_i32 s12, s5
	v_cvt_f32_u32_e32 v1, s12
	s_ashr_i32 s3, s6, 31
	s_lshr_b32 s3, s3, 30
	s_add_i32 s3, s6, s3
	v_rcp_iflag_f32_e32 v1, v1
	s_and_b32 s3, s3, -4
	s_sub_i32 s13, s6, s3
	s_sub_i32 s14, 0, s12
	v_mul_f32_e32 v1, 0x4f7ffffe, v1
	v_cvt_u32_f32_e32 v1, v1
	s_mul_i32 s3, s13, s4
	s_add_i32 s2, s3, s2
	s_abs_i32 s4, s2
	v_readfirstlane_b32 s15, v1
	s_mul_i32 s14, s14, s15
	s_mul_hi_u32 s14, s15, s14
	s_add_i32 s15, s15, s14
	s_mul_hi_u32 s14, s4, s15
	s_mul_i32 s15, s14, s12
	s_xor_b32 s3, s2, s5
	s_sub_i32 s4, s4, s15
	s_ashr_i32 s3, s3, 31
	s_add_i32 s15, s14, 1
	s_sub_i32 s22, s4, s12
	s_cmp_ge_u32 s4, s12
	s_cselect_b32 s14, s15, s14
	s_cselect_b32 s4, s22, s4
	s_add_i32 s15, s14, 1
	s_cmp_ge_u32 s4, s12
	s_cselect_b32 s4, s15, s14
	s_xor_b32 s4, s4, s3
	s_sub_i32 s3, s4, s3
	s_mul_i32 s4, s3, s5
	s_sub_i32 s2, s2, s4
	s_add_i32 s2, s2, s6
	s_sub_i32 s6, s2, s13
.LBB2_8:
	s_mov_b32 s2, s6
	s_mov_b32 s6, s3
.LBB2_9:
	s_add_u32 s22, 0, 0
	s_addc_u32 s8, s8, -1
	s_add_u32 s3, 0, 0
	s_addc_u32 s3, s10, 0x7fffffff
	s_lshl_b32 s5, s2, 8
	v_and_b32_e32 v1, 0xfc, v0
	v_and_b32_e32 v4, 63, v0
	v_and_b32_e32 v5, 48, v0
	v_add_u32_e32 v2, s5, v1
	v_lshrrev_b32_e32 v35, 5, v0
	v_sub_u32_e32 v4, v4, v5
	v_lshlrev_b32_e32 v5, 7, v0
	v_and_b32_e32 v7, 0x80, v0
	s_movk_i32 s5, 0x1800
	v_lshlrev_b32_e32 v147, 3, v0
	v_mul_lo_u32 v3, v35, s20
	v_and_or_b32 v38, v5, s5, v7
	s_ashr_i32 s5, s7, 31
	s_mul_i32 s12, s3, s20
	s_lshl_b32 s3, s6, 8
	v_and_b32_e32 v34, 3, v0
	v_mul_lo_u32 v2, v2, s11
	v_and_b32_e32 v36, 0xf8, v147
	v_lshlrev_b32_e32 v3, 2, v3
	v_or_b32_e32 v6, v5, v0
	s_lshr_b32 s5, s5, 30
	s_mov_b32 s24, s11
	s_mov_b32 s25, s20
	s_mul_i32 s4, s8, s11
	v_lshl_add_u32 v2, v34, 3, v2
	v_add3_u32 v3, v3, v36, s3
	v_lshlrev_b32_e32 v37, 3, v4
	v_lshlrev_b32_e32 v39, 2, v4
	v_and_b32_e32 v40, 0x1840, v6
	s_add_i32 s7, s7, s5
	s_ashr_i32 s26, s7, 2
	; sched_barrier mask(0x00000000)
	v_add_u32_e32 v12, s11, v2
	v_add_u32_e32 v11, s20, v3
	;; [unrolled: 1-line block ×3, first 2 shown]
	s_add_i32 s4, s10, s4
	s_mov_b32 s7, 0x20000
	v_add_u32_e32 v42, s11, v19
	s_lshl_b32 s6, s4, 1
	s_mov_b32 s4, s16
	s_mov_b32 s5, s17
	v_lshlrev_b32_e32 v10, 1, v2
	s_mov_b32 s13, s19
	s_mov_b32 s15, s7
	s_add_i32 s10, s9, s12
	s_lshl_b32 s14, s10, 1
	v_lshlrev_b32_e32 v18, 1, v3
	v_lshlrev_b32_e32 v20, 1, v11
	s_mov_b32 s12, s18
	v_lshlrev_b32_e32 v27, 1, v19
	v_add_u32_e32 v26, s20, v11
	v_lshlrev_b32_e32 v28, 1, v42
	v_lshlrev_b32_e32 v13, 1, v12
	;; [unrolled: 1-line block ×3, first 2 shown]
	v_add_u32_e32 v41, s20, v26
	buffer_load_dwordx4 v[2:5], v10, s[4:7], 0 offen
	buffer_load_dwordx4 v[6:9], v13, s[4:7], 0 offen
	s_nop 0
	buffer_load_dwordx4 v[10:13], v18, s[12:15], 0 offen
	buffer_load_dwordx4 v[14:17], v20, s[12:15], 0 offen
	s_nop 0
	buffer_load_dwordx4 v[18:21], v27, s[4:7], 0 offen
	buffer_load_dwordx4 v[22:25], v28, s[4:7], 0 offen
	v_lshlrev_b32_e32 v44, 1, v41
	buffer_load_dwordx4 v[26:29], v43, s[12:15], 0 offen
	buffer_load_dwordx4 v[30:33], v44, s[12:15], 0 offen
	s_mul_i32 s18, s11, -3
	s_mul_i32 s10, s20, 29
	v_lshlrev_b32_e32 v1, 4, v1
	s_add_i32 s18, s18, 32
	v_lshlrev_b32_e32 v35, 11, v35
	v_lshl_or_b32 v149, v34, 12, v1
	v_lshl_or_b32 v150, v36, 3, v35
	s_mov_b32 s16, 0x5040100
	s_mov_b32 s17, 0x7060302
	v_add_lshl_u32 v153, v38, v37, 1
	s_add_i32 s19, s26, -3
	v_add_u32_e32 v148, 0x8000, v153
	v_add_u32_e32 v1, s10, v41
	;; [unrolled: 1-line block ×3, first 2 shown]
	v_lshlrev_b32_e32 v1, 1, v1
	v_add_u32_e32 v34, s18, v42
	v_lshlrev_b32_e32 v35, 1, v34
	v_add_u32_e32 v34, s11, v34
	;; [unrolled: 2-line block ×4, first 2 shown]
	v_lshlrev_b32_e32 v45, 1, v34
	v_or_b32_e32 v155, 0x4000, v150
	v_add_u32_e32 v42, s20, v36
	v_add_u32_e32 v44, s20, v42
	v_lshlrev_b32_e32 v46, 1, v44
	v_or_b32_e32 v156, 0x8000, v149
	v_lshlrev_b32_e32 v42, 1, v42
	v_lshlrev_b32_e32 v36, 1, v36
	v_or_b32_e32 v157, 0x8000, v150
	v_or_b32_e32 v158, 0xc000, v150
	v_accvgpr_write_b32 a31, 0
	v_accvgpr_write_b32 a30, 0
	;; [unrolled: 1-line block ×22, first 2 shown]
	s_waitcnt vmcnt(7)
	ds_write_b128 v149, v[2:5]
	s_waitcnt vmcnt(6)
	ds_write_b128 v149, v[6:9] offset:16
	s_waitcnt vmcnt(4)
	v_perm_b32 v2, v14, v10, s16
	v_perm_b32 v4, v14, v10, s17
	;; [unrolled: 1-line block ×3, first 2 shown]
	s_waitcnt vmcnt(0)
	v_perm_b32 v3, v30, v26, s16
	v_perm_b32 v5, v30, v26, s17
	;; [unrolled: 1-line block ×7, first 2 shown]
	ds_write_b128 v149, v[18:21] offset:32
	ds_write_b128 v149, v[22:25] offset:48
	v_perm_b32 v7, v31, v27, s16
	v_perm_b32 v9, v31, v27, s17
	;; [unrolled: 1-line block ×6, first 2 shown]
	ds_write_b128 v150, v[2:5] offset:16384
	ds_write_b128 v150, v[6:9] offset:16400
	;; [unrolled: 1-line block ×4, first 2 shown]
	s_waitcnt lgkmcnt(0)
	s_barrier
	buffer_load_dwordx4 v[98:101], v35, s[4:7], 0 offen
	buffer_load_dwordx4 v[102:105], v41, s[4:7], 0 offen
	;; [unrolled: 1-line block ×8, first 2 shown]
	v_add_lshl_u32 v1, v40, v39, 1
	v_add_u32_e32 v154, 0x4000, v1
	v_add_u32_e32 v2, 0x4800, v1
	;; [unrolled: 1-line block ×6, first 2 shown]
	v_lshlrev_b32_e32 v54, 1, v3
	v_add_u32_e32 v4, s20, v1
	v_add_u32_e32 v3, s11, v3
	v_lshlrev_b32_e32 v56, 1, v3
	v_add_u32_e32 v5, s20, v4
	v_add_u32_e32 v3, s11, v3
	v_lshlrev_b32_e32 v55, 1, v1
	v_add_u32_e32 v1, s20, v5
	v_add_u32_e32 v146, s11, v3
	v_lshlrev_b32_e32 v58, 1, v4
	v_lshlrev_b32_e32 v57, 1, v3
	;; [unrolled: 1-line block ×5, first 2 shown]
	ds_read2_b64 v[6:9], v154 offset1:32
	ds_read2_b64 v[14:17], v2 offset1:32
	ds_read2_b64 v[10:13], v154 offset0:64 offset1:96
	ds_read2_b64 v[18:21], v2 offset0:64 offset1:96
	;; [unrolled: 1-line block ×6, first 2 shown]
	ds_read_b128 v[82:85], v153
	ds_read_b128 v[74:77], v153 offset:512
	ds_read_b128 v[66:69], v153 offset:1024
	;; [unrolled: 1-line block ×7, first 2 shown]
	buffer_load_dwordx4 v[94:97], v54, s[4:7], 0 offen
	buffer_load_dwordx4 v[90:93], v56, s[4:7], 0 offen
                                        ; kill: killed $vgpr54
                                        ; kill: killed $vgpr56
	buffer_load_dwordx4 v[86:89], v57, s[4:7], 0 offen
	buffer_load_dwordx4 v[78:81], v59, s[4:7], 0 offen
	s_nop 0
	buffer_load_dwordx4 v[54:57], v55, s[12:15], 0 offen
	s_nop 0
	;; [unrolled: 2-line block ×4, first 2 shown]
	buffer_load_dwordx4 v[70:73], v70, s[12:15], 0 offen
	v_accvgpr_write_b32 a17, 0
	v_accvgpr_write_b32 a16, 0
	;; [unrolled: 1-line block ×13, first 2 shown]
	s_waitcnt vmcnt(15)
	ds_write_b128 v149, v[98:101] offset:32768
	s_waitcnt vmcnt(14)
	ds_write_b128 v149, v[102:105] offset:32784
	;; [unrolled: 2-line block ×4, first 2 shown]
	v_accvgpr_write_b32 a32, 0
	s_waitcnt vmcnt(10)
	v_perm_b32 v98, v118, v114, s16
	v_perm_b32 v100, v118, v114, s17
	s_waitcnt vmcnt(8)
	v_perm_b32 v99, v126, v122, s16
	v_perm_b32 v101, v126, v122, s17
	v_accvgpr_write_b32 a39, 0
	v_accvgpr_write_b32 a38, 0
	v_accvgpr_write_b32 a37, 0
	v_accvgpr_write_b32 a36, 0
	v_accvgpr_write_b32 a43, 0
	v_accvgpr_write_b32 a42, 0
	v_accvgpr_write_b32 a41, 0
	v_accvgpr_write_b32 a40, 0
	v_accvgpr_write_b32 a47, 0
	v_accvgpr_write_b32 a46, 0
	v_accvgpr_write_b32 a45, 0
	v_accvgpr_write_b32 a44, 0
	v_accvgpr_write_b32 a51, 0
	v_accvgpr_write_b32 a50, 0
	v_accvgpr_write_b32 a49, 0
	v_accvgpr_write_b32 a48, 0
	v_accvgpr_write_b32 a55, 0
	v_accvgpr_write_b32 a54, 0
	v_accvgpr_write_b32 a53, 0
	v_accvgpr_write_b32 a52, 0
	v_accvgpr_write_b32 a59, 0
	v_accvgpr_write_b32 a58, 0
	v_accvgpr_write_b32 a57, 0
	v_accvgpr_write_b32 a56, 0
	v_accvgpr_write_b32 a63, 0
	v_accvgpr_write_b32 a62, 0
	v_accvgpr_write_b32 a61, 0
	v_accvgpr_write_b32 a60, 0
	v_accvgpr_write_b32 a67, 0
	v_accvgpr_write_b32 a66, 0
	v_accvgpr_write_b32 a65, 0
	v_accvgpr_write_b32 a64, 0
	v_accvgpr_write_b32 a71, 0
	v_accvgpr_write_b32 a70, 0
	v_accvgpr_write_b32 a69, 0
	v_accvgpr_write_b32 a68, 0
	v_accvgpr_write_b32 a75, 0
	v_accvgpr_write_b32 a74, 0
	v_accvgpr_write_b32 a73, 0
	v_accvgpr_write_b32 a72, 0
	v_accvgpr_write_b32 a79, 0
	v_accvgpr_write_b32 a78, 0
	v_accvgpr_write_b32 a77, 0
	v_accvgpr_write_b32 a76, 0
	v_accvgpr_write_b32 a83, 0
	v_accvgpr_write_b32 a82, 0
	v_accvgpr_write_b32 a81, 0
	v_accvgpr_write_b32 a80, 0
	v_accvgpr_write_b32 a87, 0
	v_accvgpr_write_b32 a86, 0
	v_accvgpr_write_b32 a85, 0
	v_accvgpr_write_b32 a84, 0
	v_accvgpr_write_b32 a91, 0
	v_accvgpr_write_b32 a90, 0
	v_accvgpr_write_b32 a89, 0
	v_accvgpr_write_b32 a88, 0
	v_accvgpr_write_b32 a255, 0
	v_accvgpr_write_b32 a254, 0
	v_accvgpr_write_b32 a253, 0
	v_accvgpr_write_b32 a252, 0
	v_accvgpr_write_b32 a251, 0
	v_accvgpr_write_b32 a250, 0
	v_accvgpr_write_b32 a249, 0
	v_accvgpr_write_b32 a248, 0
	v_accvgpr_write_b32 a247, 0
	v_accvgpr_write_b32 a246, 0
	v_accvgpr_write_b32 a245, 0
	v_accvgpr_write_b32 a244, 0
	v_accvgpr_write_b32 a243, 0
	v_accvgpr_write_b32 a242, 0
	v_accvgpr_write_b32 a241, 0
	v_accvgpr_write_b32 a240, 0
	v_accvgpr_write_b32 a239, 0
	v_accvgpr_write_b32 a238, 0
	v_accvgpr_write_b32 a237, 0
	v_accvgpr_write_b32 a236, 0
	v_accvgpr_write_b32 a235, 0
	v_accvgpr_write_b32 a234, 0
	v_accvgpr_write_b32 a233, 0
	v_accvgpr_write_b32 a232, 0
	v_accvgpr_write_b32 a231, 0
	v_accvgpr_write_b32 a230, 0
	v_accvgpr_write_b32 a229, 0
	v_accvgpr_write_b32 a228, 0
	v_accvgpr_write_b32 a227, 0
	v_accvgpr_write_b32 a226, 0
	v_accvgpr_write_b32 a225, 0
	v_accvgpr_write_b32 a224, 0
	v_accvgpr_write_b32 a223, 0
	v_accvgpr_write_b32 a222, 0
	v_accvgpr_write_b32 a221, 0
	v_accvgpr_write_b32 a220, 0
	v_accvgpr_write_b32 a219, 0
	v_accvgpr_write_b32 a218, 0
	v_accvgpr_write_b32 a217, 0
	v_accvgpr_write_b32 a216, 0
	v_accvgpr_write_b32 a211, 0
	v_accvgpr_write_b32 a210, 0
	v_accvgpr_write_b32 a209, 0
	v_accvgpr_write_b32 a208, 0
	v_accvgpr_write_b32 a215, 0
	v_accvgpr_write_b32 a214, 0
	v_accvgpr_write_b32 a213, 0
	v_accvgpr_write_b32 a212, 0
	v_accvgpr_write_b32 a207, 0
	v_accvgpr_write_b32 a206, 0
	v_accvgpr_write_b32 a205, 0
	v_accvgpr_write_b32 a204, 0
	v_accvgpr_write_b32 a203, 0
	v_accvgpr_write_b32 a202, 0
	v_accvgpr_write_b32 a201, 0
	v_accvgpr_write_b32 a200, 0
	v_accvgpr_write_b32 a199, 0
	v_accvgpr_write_b32 a198, 0
	v_accvgpr_write_b32 a197, 0
	v_accvgpr_write_b32 a196, 0
	v_accvgpr_write_b32 a195, 0
	v_accvgpr_write_b32 a194, 0
	v_accvgpr_write_b32 a193, 0
	v_accvgpr_write_b32 a192, 0
	v_accvgpr_write_b32 a191, 0
	v_accvgpr_write_b32 a190, 0
	v_accvgpr_write_b32 a189, 0
	v_accvgpr_write_b32 a188, 0
	v_accvgpr_write_b32 a187, 0
	v_accvgpr_write_b32 a186, 0
	v_accvgpr_write_b32 a185, 0
	v_accvgpr_write_b32 a184, 0
	v_accvgpr_write_b32 a183, 0
	v_accvgpr_write_b32 a182, 0
	v_accvgpr_write_b32 a181, 0
	v_accvgpr_write_b32 a180, 0
	v_accvgpr_write_b32 a175, 0
	v_accvgpr_write_b32 a174, 0
	v_accvgpr_write_b32 a173, 0
	v_accvgpr_write_b32 a172, 0
	v_accvgpr_write_b32 a171, 0
	v_accvgpr_write_b32 a170, 0
	v_accvgpr_write_b32 a169, 0
	v_accvgpr_write_b32 a168, 0
	v_accvgpr_write_b32 a179, 0
	v_accvgpr_write_b32 a178, 0
	v_accvgpr_write_b32 a177, 0
	v_accvgpr_write_b32 a176, 0
	v_accvgpr_write_b32 a167, 0
	v_accvgpr_write_b32 a166, 0
	v_accvgpr_write_b32 a165, 0
	v_accvgpr_write_b32 a164, 0
	v_accvgpr_write_b32 a163, 0
	v_accvgpr_write_b32 a162, 0
	v_accvgpr_write_b32 a161, 0
	v_accvgpr_write_b32 a160, 0
	v_accvgpr_write_b32 a155, 0
	v_accvgpr_write_b32 a154, 0
	v_accvgpr_write_b32 a153, 0
	v_accvgpr_write_b32 a152, 0
	v_accvgpr_write_b32 a151, 0
	v_accvgpr_write_b32 a150, 0
	v_accvgpr_write_b32 a149, 0
	v_accvgpr_write_b32 a148, 0
	v_accvgpr_write_b32 a159, 0
	v_accvgpr_write_b32 a158, 0
	v_accvgpr_write_b32 a157, 0
	v_accvgpr_write_b32 a156, 0
	v_accvgpr_write_b32 a147, 0
	v_accvgpr_write_b32 a146, 0
	v_accvgpr_write_b32 a145, 0
	v_accvgpr_write_b32 a144, 0
	v_accvgpr_write_b32 a143, 0
	v_accvgpr_write_b32 a142, 0
	v_accvgpr_write_b32 a141, 0
	v_accvgpr_write_b32 a140, 0
	v_accvgpr_write_b32 a135, 0
	v_accvgpr_write_b32 a134, 0
	v_accvgpr_write_b32 a133, 0
	v_accvgpr_write_b32 a132, 0
	v_accvgpr_write_b32 a131, 0
	v_accvgpr_write_b32 a130, 0
	v_accvgpr_write_b32 a129, 0
	v_accvgpr_write_b32 a128, 0
	v_accvgpr_write_b32 a139, 0
	v_accvgpr_write_b32 a138, 0
	v_accvgpr_write_b32 a137, 0
	v_accvgpr_write_b32 a136, 0
	v_accvgpr_write_b32 a127, 0
	v_accvgpr_write_b32 a126, 0
	v_accvgpr_write_b32 a125, 0
	v_accvgpr_write_b32 a124, 0
	v_accvgpr_write_b32 a123, 0
	v_accvgpr_write_b32 a122, 0
	v_accvgpr_write_b32 a121, 0
	v_accvgpr_write_b32 a120, 0
	v_accvgpr_write_b32 a115, 0
	v_accvgpr_write_b32 a114, 0
	v_accvgpr_write_b32 a113, 0
	v_accvgpr_write_b32 a112, 0
	v_accvgpr_write_b32 a111, 0
	v_accvgpr_write_b32 a110, 0
	v_accvgpr_write_b32 a109, 0
	v_accvgpr_write_b32 a108, 0
	v_accvgpr_write_b32 a119, 0
	v_accvgpr_write_b32 a118, 0
	v_accvgpr_write_b32 a117, 0
	v_accvgpr_write_b32 a116, 0
	v_accvgpr_write_b32 a107, 0
	v_accvgpr_write_b32 a106, 0
	v_accvgpr_write_b32 a105, 0
	v_accvgpr_write_b32 a104, 0
	v_accvgpr_write_b32 a103, 0
	v_accvgpr_write_b32 a102, 0
	v_accvgpr_write_b32 a101, 0
	v_accvgpr_write_b32 a100, 0
	v_accvgpr_write_b32 a99, 0
	v_accvgpr_write_b32 a98, 0
	v_accvgpr_write_b32 a97, 0
	v_accvgpr_write_b32 a96, 0
	v_accvgpr_write_b32 a95, 0
	v_accvgpr_write_b32 a94, 0
	v_accvgpr_write_b32 a93, 0
	v_accvgpr_write_b32 a92, 0
	v_add_u32_e32 v159, 0x4000, v152
	v_add_u32_e32 v160, 0x800, v151
	;; [unrolled: 1-line block ×3, first 2 shown]
	v_perm_b32 v102, v119, v115, s16
	v_perm_b32 v104, v119, v115, s17
	;; [unrolled: 1-line block ×12, first 2 shown]
	ds_write_b128 v150, v[98:101] offset:49152
	ds_write_b128 v150, v[102:105] offset:49168
	ds_write_b128 v150, v[106:109] offset:49184
	ds_write_b128 v150, v[110:113] offset:49200
.LBB2_10:                               ; =>This Inner Loop Header: Depth=1
	s_waitcnt lgkmcnt(14)
	v_mfma_f32_16x16x16f16 a[252:255], v[82:83], v[6:7], a[252:255]
	v_add_u32_e32 v114, s18, v146
	s_waitcnt lgkmcnt(0)
	s_barrier
	ds_read_b128 v[110:113], v148
	v_add_u32_e32 v1, s10, v1
	ds_read_b128 v[162:165], v148 offset:2560
	ds_read_b128 v[166:169], v148 offset:3072
	v_mfma_f32_16x16x16f16 a[252:255], v[84:85], v[14:15], a[252:255]
	s_waitcnt vmcnt(7)
	ds_write_b128 v149, v[94:97]
	v_lshlrev_b32_e32 v94, 1, v114
	ds_read_b128 v[142:145], v148 offset:3584
	; sched_group_barrier mask(0x00000008) size(1) SyncID(0)
	; sched_group_barrier mask(0x00000100) size(1) SyncID(0)
	;; [unrolled: 1-line block ×4, first 2 shown]
	v_mfma_f32_16x16x16f16 a[248:251], v[82:83], v[8:9], a[248:251]
	buffer_load_dwordx4 v[94:97], v94, s[4:7], 0 offen
	; sched_group_barrier mask(0x00000008) size(1) SyncID(0)
	; sched_group_barrier mask(0x00000020) size(1) SyncID(0)
	v_mfma_f32_16x16x16f16 a[244:247], v[82:83], v[10:11], a[244:247]
	v_mfma_f32_16x16x16f16 a[240:243], v[82:83], v[12:13], a[240:243]
	;; [unrolled: 1-line block ×7, first 2 shown]
	; sched_group_barrier mask(0x00000008) size(7) SyncID(0)
	v_mfma_f32_16x16x16f16 a[232:235], v[82:83], v[24:25], a[232:235]
	ds_read2_b64 v[98:101], v159 offset1:32
	; sched_group_barrier mask(0x00000008) size(1) SyncID(0)
	; sched_group_barrier mask(0x00000100) size(1) SyncID(0)
	v_mfma_f32_16x16x16f16 a[232:235], v[84:85], v[32:33], a[232:235]
	s_waitcnt vmcnt(7)
	ds_write_b128 v149, v[90:93] offset:16
	v_lshlrev_b32_e32 v90, 1, v1
	v_add_u32_e32 v1, s25, v1
	; sched_group_barrier mask(0x00000008) size(1) SyncID(0)
	; sched_group_barrier mask(0x00000200) size(1) SyncID(0)
	v_mfma_f32_16x16x16f16 a[228:231], v[82:83], v[34:35], a[228:231]
	buffer_load_dwordx4 v[106:109], v90, s[12:15], 0 offen
	; sched_group_barrier mask(0x00000008) size(1) SyncID(0)
	; sched_group_barrier mask(0x00000020) size(1) SyncID(0)
	v_mfma_f32_16x16x16f16 a[224:227], v[82:83], v[36:37], a[224:227]
	v_add_u32_e32 v82, s24, v114
	v_lshlrev_b32_e32 v83, 1, v82
	v_add_u32_e32 v82, s24, v82
	v_mfma_f32_16x16x16f16 a[220:223], v[74:75], v[6:7], a[220:223]
	v_mfma_f32_16x16x16f16 a[216:219], v[74:75], v[8:9], a[216:219]
	;; [unrolled: 1-line block ×4, first 2 shown]
	s_waitcnt vmcnt(4)
	v_perm_b32 v84, v60, v56, s17
	s_waitcnt vmcnt(2)
	v_perm_b32 v85, v72, v64, s17
	v_mfma_f32_16x16x16f16 a[220:223], v[76:77], v[14:15], a[220:223]
	v_mfma_f32_16x16x16f16 a[216:219], v[76:77], v[16:17], a[216:219]
	; sched_group_barrier mask(0x00000008) size(7) SyncID(0)
	v_mfma_f32_16x16x16f16 a[208:211], v[74:75], v[10:11], a[208:211]
	ds_read2_b64 v[102:105], v160 offset1:32
	; sched_group_barrier mask(0x00000008) size(1) SyncID(0)
	; sched_group_barrier mask(0x00000100) size(1) SyncID(0)
	v_mfma_f32_16x16x16f16 a[208:211], v[76:77], v[18:19], a[208:211]
	ds_write_b128 v149, v[86:89] offset:32
	; sched_group_barrier mask(0x00000008) size(1) SyncID(0)
	; sched_group_barrier mask(0x00000200) size(1) SyncID(0)
	v_mfma_f32_16x16x16f16 a[212:215], v[74:75], v[12:13], a[212:215]
	buffer_load_dwordx4 v[86:89], v83, s[4:7], 0 offen
	v_perm_b32 v83, v72, v64, s16
	; sched_group_barrier mask(0x00000008) size(1) SyncID(0)
	; sched_group_barrier mask(0x00000020) size(1) SyncID(0)
	v_mfma_f32_16x16x16f16 a[204:207], v[74:75], v[22:23], a[204:207]
	v_mfma_f32_16x16x16f16 a[200:203], v[74:75], v[24:25], a[200:203]
	;; [unrolled: 1-line block ×7, first 2 shown]
	; sched_group_barrier mask(0x00000008) size(7) SyncID(0)
	v_mfma_f32_16x16x16f16 a[192:195], v[74:75], v[36:37], a[192:195]
	v_lshlrev_b32_e32 v74, 1, v82
	ds_read2_b64 v[114:117], v159 offset0:64 offset1:96
	; sched_group_barrier mask(0x00000008) size(1) SyncID(0)
	; sched_group_barrier mask(0x00000100) size(1) SyncID(0)
	v_mfma_f32_16x16x16f16 a[192:195], v[76:77], v[4:5], a[192:195]
	ds_write_b128 v149, v[78:81] offset:48
	v_perm_b32 v78, v58, v54, s16
	v_perm_b32 v80, v58, v54, s17
	v_add_u32_e32 v54, s24, v82
	v_perm_b32 v79, v70, v62, s16
	v_perm_b32 v81, v70, v62, s17
	v_lshlrev_b32_e32 v58, 1, v54
	v_mfma_f32_16x16x16f16 a[188:191], v[66:67], v[6:7], a[188:191]
	buffer_load_dwordx4 v[74:77], v74, s[4:7], 0 offen
	v_perm_b32 v82, v60, v56, s16
	; sched_group_barrier mask(0x00000008) size(1) SyncID(0)
	; sched_group_barrier mask(0x00000200) size(1) SyncID(0)
	;; [unrolled: 1-line block ×4, first 2 shown]
	v_mfma_f32_16x16x16f16 a[184:187], v[66:67], v[8:9], a[184:187]
	v_mfma_f32_16x16x16f16 a[180:183], v[66:67], v[10:11], a[180:183]
	;; [unrolled: 1-line block ×7, first 2 shown]
	; sched_group_barrier mask(0x00000008) size(7) SyncID(0)
	v_mfma_f32_16x16x16f16 a[168:171], v[66:67], v[22:23], a[168:171]
	ds_read2_b64 v[118:121], v160 offset0:64 offset1:96
	; sched_group_barrier mask(0x00000008) size(1) SyncID(0)
	; sched_group_barrier mask(0x00000100) size(1) SyncID(0)
	v_mfma_f32_16x16x16f16 a[168:171], v[68:69], v[30:31], a[168:171]
	ds_write_b128 v150, v[78:81] offset:16384
	; sched_group_barrier mask(0x00000008) size(1) SyncID(0)
	; sched_group_barrier mask(0x00000200) size(1) SyncID(0)
	v_mfma_f32_16x16x16f16 a[176:179], v[66:67], v[24:25], a[176:179]
	buffer_load_dwordx4 v[78:81], v58, s[4:7], 0 offen
	; sched_group_barrier mask(0x00000008) size(1) SyncID(0)
	; sched_group_barrier mask(0x00000020) size(1) SyncID(0)
	v_mfma_f32_16x16x16f16 a[164:167], v[66:67], v[34:35], a[164:167]
	v_mfma_f32_16x16x16f16 a[160:163], v[66:67], v[36:37], a[160:163]
	v_perm_b32 v66, v59, v55, s16
	v_perm_b32 v67, v71, v63, s16
	v_mfma_f32_16x16x16f16 a[152:155], v[50:51], v[6:7], a[152:155]
	v_mfma_f32_16x16x16f16 a[176:179], v[68:69], v[32:33], a[176:179]
	;; [unrolled: 1-line block ×4, first 2 shown]
	v_perm_b32 v68, v59, v55, s17
	v_perm_b32 v69, v71, v63, s17
	v_lshlrev_b32_e32 v55, 1, v1
	v_add_u32_e32 v1, s25, v1
	v_mfma_f32_16x16x16f16 a[152:155], v[52:53], v[14:15], a[152:155]
	; sched_group_barrier mask(0x00000008) size(7) SyncID(0)
	v_mfma_f32_16x16x16f16 a[148:151], v[50:51], v[8:9], a[148:151]
	ds_read2_b64 v[122:125], v159 offset0:128 offset1:160
	; sched_group_barrier mask(0x00000008) size(1) SyncID(0)
	; sched_group_barrier mask(0x00000100) size(1) SyncID(0)
	v_mfma_f32_16x16x16f16 a[148:151], v[52:53], v[16:17], a[148:151]
	ds_write_b128 v155, v[66:69] offset:16
	; sched_group_barrier mask(0x00000008) size(1) SyncID(0)
	; sched_group_barrier mask(0x00000200) size(1) SyncID(0)
	v_mfma_f32_16x16x16f16 a[156:159], v[50:51], v[10:11], a[156:159]
	buffer_load_dwordx4 v[66:69], v55, s[12:15], 0 offen
	; sched_group_barrier mask(0x00000008) size(1) SyncID(0)
	; sched_group_barrier mask(0x00000020) size(1) SyncID(0)
	v_mfma_f32_16x16x16f16 a[144:147], v[50:51], v[12:13], a[144:147]
	v_mfma_f32_16x16x16f16 a[140:143], v[50:51], v[22:23], a[140:143]
	;; [unrolled: 1-line block ×7, first 2 shown]
	; sched_group_barrier mask(0x00000008) size(7) SyncID(0)
	v_mfma_f32_16x16x16f16 a[128:131], v[50:51], v[34:35], a[128:131]
	ds_read2_b64 v[130:133], v160 offset0:128 offset1:160
	; sched_group_barrier mask(0x00000008) size(1) SyncID(0)
	; sched_group_barrier mask(0x00000100) size(1) SyncID(0)
	v_mfma_f32_16x16x16f16 a[128:131], v[52:53], v[2:3], a[128:131]
	ds_write_b128 v155, v[82:85] offset:32
	; sched_group_barrier mask(0x00000008) size(1) SyncID(0)
	; sched_group_barrier mask(0x00000200) size(1) SyncID(0)
	v_mfma_f32_16x16x16f16 a[136:139], v[50:51], v[36:37], a[136:139]
	v_lshlrev_b32_e32 v50, 1, v1
	buffer_load_dwordx4 v[138:141], v50, s[12:15], 0 offen
	v_perm_b32 v50, v61, v57, s16
	v_perm_b32 v51, v73, v65, s16
	v_add_u32_e32 v1, s25, v1
	; sched_group_barrier mask(0x00000008) size(1) SyncID(0)
	; sched_group_barrier mask(0x00000020) size(1) SyncID(0)
	v_mfma_f32_16x16x16f16 a[124:127], v[46:47], v[6:7], a[124:127]
	v_mfma_f32_16x16x16f16 a[120:123], v[46:47], v[8:9], a[120:123]
	;; [unrolled: 1-line block ×4, first 2 shown]
	v_perm_b32 v52, v61, v57, s17
	v_perm_b32 v53, v73, v65, s17
	v_mfma_f32_16x16x16f16 a[124:127], v[48:49], v[14:15], a[124:127]
	v_mfma_f32_16x16x16f16 a[120:123], v[48:49], v[16:17], a[120:123]
	;; [unrolled: 1-line block ×3, first 2 shown]
	; sched_group_barrier mask(0x00000008) size(7) SyncID(0)
	v_mfma_f32_16x16x16f16 a[108:111], v[46:47], v[12:13], a[108:111]
	ds_read2_b64 v[134:137], v159 offset0:192 offset1:224
	; sched_group_barrier mask(0x00000008) size(1) SyncID(0)
	; sched_group_barrier mask(0x00000100) size(1) SyncID(0)
	v_mfma_f32_16x16x16f16 a[108:111], v[48:49], v[20:21], a[108:111]
	ds_write_b128 v155, v[50:53] offset:48
	v_lshlrev_b32_e32 v50, 1, v1
	v_add_u32_e32 v1, s10, v1
	; sched_group_barrier mask(0x00000008) size(1) SyncID(0)
	; sched_group_barrier mask(0x00000200) size(1) SyncID(0)
	v_mfma_f32_16x16x16f16 a[116:119], v[46:47], v[22:23], a[116:119]
	buffer_load_dwordx4 v[50:53], v50, s[12:15], 0 offen
	; sched_group_barrier mask(0x00000008) size(1) SyncID(0)
	; sched_group_barrier mask(0x00000020) size(1) SyncID(0)
	v_mfma_f32_16x16x16f16 a[104:107], v[46:47], v[24:25], a[104:107]
	v_mfma_f32_16x16x16f16 a[100:103], v[46:47], v[34:35], a[100:103]
	;; [unrolled: 1-line block ×7, first 2 shown]
	; sched_group_barrier mask(0x00000008) size(7) SyncID(0)
	v_mfma_f32_16x16x16f16 a[92:95], v[42:43], v[6:7], a[92:95]
	ds_read2_b64 v[126:129], v160 offset0:192 offset1:224
	; sched_group_barrier mask(0x00000008) size(1) SyncID(0)
	; sched_group_barrier mask(0x00000100) size(1) SyncID(0)
	v_mfma_f32_16x16x16f16 a[92:95], v[44:45], v[14:15], a[92:95]
	; sched_group_barrier mask(0x00000008) size(1) SyncID(0)
	; sched_group_barrier mask(0x00000200) size(1) SyncID(0)
	v_mfma_f32_16x16x16f16 a[88:91], v[42:43], v[8:9], a[88:91]
	; sched_group_barrier mask(0x00000008) size(1) SyncID(0)
	; sched_group_barrier mask(0x00000020) size(1) SyncID(0)
	v_mfma_f32_16x16x16f16 a[84:87], v[42:43], v[10:11], a[84:87]
	v_mfma_f32_16x16x16f16 a[80:83], v[42:43], v[12:13], a[80:83]
	v_mfma_f32_16x16x16f16 a[76:79], v[42:43], v[22:23], a[76:79]
	v_mfma_f32_16x16x16f16 a[88:91], v[44:45], v[16:17], a[88:91]
	v_mfma_f32_16x16x16f16 a[84:87], v[44:45], v[18:19], a[84:87]
	v_mfma_f32_16x16x16f16 a[80:83], v[44:45], v[20:21], a[80:83]
	v_mfma_f32_16x16x16f16 a[76:79], v[44:45], v[30:31], a[76:79]
	; sched_group_barrier mask(0x00000008) size(7) SyncID(0)
	v_mfma_f32_16x16x16f16 a[72:75], v[42:43], v[24:25], a[72:75]
	ds_read_b128 v[46:49], v148 offset:512
	; sched_group_barrier mask(0x00000008) size(1) SyncID(0)
	; sched_group_barrier mask(0x00000100) size(1) SyncID(0)
	v_mfma_f32_16x16x16f16 a[72:75], v[44:45], v[32:33], a[72:75]
	; sched_group_barrier mask(0x00000008) size(1) SyncID(0)
	; sched_group_barrier mask(0x00000200) size(1) SyncID(0)
	v_mfma_f32_16x16x16f16 a[68:71], v[42:43], v[34:35], a[68:71]
	; sched_group_barrier mask(0x00000008) size(1) SyncID(0)
	; sched_group_barrier mask(0x00000020) size(1) SyncID(0)
	v_mfma_f32_16x16x16f16 a[64:67], v[42:43], v[36:37], a[64:67]
	v_mfma_f32_16x16x16f16 a[60:63], v[38:39], v[6:7], a[60:63]
	v_mfma_f32_16x16x16f16 a[56:59], v[38:39], v[8:9], a[56:59]
	v_mfma_f32_16x16x16f16 a[68:71], v[44:45], v[2:3], a[68:71]
	v_mfma_f32_16x16x16f16 a[64:67], v[44:45], v[4:5], a[64:67]
	v_mfma_f32_16x16x16f16 a[60:63], v[40:41], v[14:15], a[60:63]
	v_mfma_f32_16x16x16f16 a[56:59], v[40:41], v[16:17], a[56:59]
	; sched_group_barrier mask(0x00000008) size(7) SyncID(0)
	v_mfma_f32_16x16x16f16 a[52:55], v[38:39], v[10:11], a[52:55]
	ds_read_b128 v[42:45], v148 offset:1024
	;; [unrolled: 18-line block ×3, first 2 shown]
	; sched_group_barrier mask(0x00000008) size(1) SyncID(0)
	; sched_group_barrier mask(0x00000100) size(1) SyncID(0)
	v_mfma_f32_16x16x16f16 a[32:35], v[40:41], v[4:5], a[32:35]
	ds_read_b128 v[38:41], v148 offset:2048
	; sched_group_barrier mask(0x00000008) size(1) SyncID(0)
	; sched_group_barrier mask(0x00000200) size(1) SyncID(0)
	v_mfma_f32_16x16x16f16 a[24:27], v[26:27], v[6:7], a[24:27]
	; sched_group_barrier mask(0x00000008) size(1) SyncID(0)
	; sched_group_barrier mask(0x00000020) size(1) SyncID(0)
	v_mfma_f32_16x16x16f16 a[20:23], v[26:27], v[8:9], a[20:23]
	v_mfma_f32_16x16x16f16 a[16:19], v[26:27], v[10:11], a[16:19]
	;; [unrolled: 1-line block ×11, first 2 shown]
	; sched_group_barrier mask(0x00000008) size(7) SyncID(0)
	v_mfma_f32_16x16x16f16 a[8:11], v[28:29], v[30:31], a[8:11]
	v_mfma_f32_16x16x16f16 a[4:7], v[28:29], v[32:33], a[4:7]
	;; [unrolled: 1-line block ×3, first 2 shown]
	v_add_u32_e32 v2, s18, v54
	v_mfma_f32_16x16x16f16 a[28:31], v[28:29], v[4:5], a[28:31]
	; sched_barrier mask(0x00000000)
	s_waitcnt lgkmcnt(14)
	v_mfma_f32_16x16x16f16 a[252:255], v[110:111], v[98:99], a[252:255]
	v_lshlrev_b32_e32 v3, 1, v2
	s_waitcnt lgkmcnt(0)
	s_barrier
	ds_read_b128 v[82:85], v153
	v_add_u32_e32 v2, s24, v2
	s_waitcnt vmcnt(2)
	v_perm_b32 v4, v66, v106, s17
	s_waitcnt vmcnt(0)
	v_perm_b32 v5, v50, v138, s17
	v_mfma_f32_16x16x16f16 a[252:255], v[112:113], v[102:103], a[252:255]
	ds_write_b128 v156, v[94:97]
	ds_read_b128 v[26:29], v153 offset:3584
	; sched_group_barrier mask(0x00000008) size(1) SyncID(0)
	; sched_group_barrier mask(0x00000100) size(1) SyncID(0)
	;; [unrolled: 1-line block ×4, first 2 shown]
	v_mfma_f32_16x16x16f16 a[248:251], v[110:111], v[100:101], a[248:251]
	buffer_load_dwordx4 v[94:97], v3, s[4:7], 0 offen
	v_lshlrev_b32_e32 v3, 1, v2
	v_add_u32_e32 v2, s24, v2
	v_add_u32_e32 v146, s24, v2
	; sched_group_barrier mask(0x00000008) size(1) SyncID(0)
	; sched_group_barrier mask(0x00000020) size(1) SyncID(0)
	v_mfma_f32_16x16x16f16 a[244:247], v[110:111], v[114:115], a[244:247]
	v_mfma_f32_16x16x16f16 a[240:243], v[110:111], v[116:117], a[240:243]
	v_mfma_f32_16x16x16f16 a[236:239], v[110:111], v[122:123], a[236:239]
	v_mfma_f32_16x16x16f16 a[248:251], v[112:113], v[104:105], a[248:251]
	v_mfma_f32_16x16x16f16 a[244:247], v[112:113], v[118:119], a[244:247]
	v_mfma_f32_16x16x16f16 a[240:243], v[112:113], v[120:121], a[240:243]
	v_mfma_f32_16x16x16f16 a[236:239], v[112:113], v[130:131], a[236:239]
	; sched_group_barrier mask(0x00000008) size(7) SyncID(0)
	v_mfma_f32_16x16x16f16 a[232:235], v[110:111], v[124:125], a[232:235]
	ds_read2_b64 v[6:9], v154 offset1:32
	; sched_group_barrier mask(0x00000008) size(1) SyncID(0)
	; sched_group_barrier mask(0x00000100) size(1) SyncID(0)
	v_mfma_f32_16x16x16f16 a[232:235], v[112:113], v[132:133], a[232:235]
	ds_write_b128 v156, v[86:89] offset:16
	; sched_group_barrier mask(0x00000008) size(1) SyncID(0)
	; sched_group_barrier mask(0x00000200) size(1) SyncID(0)
	v_mfma_f32_16x16x16f16 a[228:231], v[110:111], v[134:135], a[228:231]
	buffer_load_dwordx4 v[90:93], v3, s[4:7], 0 offen
	v_lshlrev_b32_e32 v3, 1, v2
	v_lshlrev_b32_e32 v2, 1, v146
	; sched_group_barrier mask(0x00000008) size(1) SyncID(0)
	; sched_group_barrier mask(0x00000020) size(1) SyncID(0)
	v_mfma_f32_16x16x16f16 a[224:227], v[110:111], v[136:137], a[224:227]
	v_mfma_f32_16x16x16f16 a[220:223], v[46:47], v[98:99], a[220:223]
	;; [unrolled: 1-line block ×7, first 2 shown]
	; sched_group_barrier mask(0x00000008) size(7) SyncID(0)
	v_mfma_f32_16x16x16f16 a[208:211], v[46:47], v[114:115], a[208:211]
	ds_read2_b64 v[14:17], v161 offset1:32
	; sched_group_barrier mask(0x00000008) size(1) SyncID(0)
	; sched_group_barrier mask(0x00000100) size(1) SyncID(0)
	v_mfma_f32_16x16x16f16 a[208:211], v[48:49], v[118:119], a[208:211]
	ds_write_b128 v156, v[74:77] offset:32
	; sched_group_barrier mask(0x00000008) size(1) SyncID(0)
	; sched_group_barrier mask(0x00000200) size(1) SyncID(0)
	v_mfma_f32_16x16x16f16 a[212:215], v[46:47], v[116:117], a[212:215]
	buffer_load_dwordx4 v[86:89], v3, s[4:7], 0 offen
	v_perm_b32 v3, v50, v138, s16
	; sched_group_barrier mask(0x00000008) size(1) SyncID(0)
	; sched_group_barrier mask(0x00000020) size(1) SyncID(0)
	v_mfma_f32_16x16x16f16 a[204:207], v[46:47], v[122:123], a[204:207]
	v_mfma_f32_16x16x16f16 a[200:203], v[46:47], v[124:125], a[200:203]
	;; [unrolled: 1-line block ×7, first 2 shown]
	; sched_group_barrier mask(0x00000008) size(7) SyncID(0)
	v_mfma_f32_16x16x16f16 a[192:195], v[46:47], v[136:137], a[192:195]
	ds_read2_b64 v[10:13], v154 offset0:64 offset1:96
	; sched_group_barrier mask(0x00000008) size(1) SyncID(0)
	; sched_group_barrier mask(0x00000100) size(1) SyncID(0)
	v_mfma_f32_16x16x16f16 a[192:195], v[48:49], v[128:129], a[192:195]
	ds_write_b128 v156, v[78:81] offset:48
	ds_read_b128 v[46:49], v153 offset:2048
	; sched_group_barrier mask(0x00000008) size(1) SyncID(0)
	; sched_group_barrier mask(0x00000200) size(1) SyncID(0)
	v_mfma_f32_16x16x16f16 a[188:191], v[42:43], v[98:99], a[188:191]
	buffer_load_dwordx4 v[78:81], v2, s[4:7], 0 offen
	v_perm_b32 v2, v66, v106, s16
	; sched_group_barrier mask(0x00000008) size(1) SyncID(0)
	; sched_group_barrier mask(0x00000020) size(1) SyncID(0)
	v_mfma_f32_16x16x16f16 a[184:187], v[42:43], v[100:101], a[184:187]
	v_mfma_f32_16x16x16f16 a[180:183], v[42:43], v[114:115], a[180:183]
	;; [unrolled: 1-line block ×7, first 2 shown]
	; sched_group_barrier mask(0x00000008) size(7) SyncID(0)
	v_mfma_f32_16x16x16f16 a[168:171], v[42:43], v[122:123], a[168:171]
	ds_read2_b64 v[18:21], v161 offset0:64 offset1:96
	; sched_group_barrier mask(0x00000008) size(1) SyncID(0)
	; sched_group_barrier mask(0x00000100) size(1) SyncID(0)
	v_mfma_f32_16x16x16f16 a[168:171], v[44:45], v[130:131], a[168:171]
	ds_write_b128 v157, v[2:5] offset:16384
	v_lshlrev_b32_e32 v2, 1, v1
	v_perm_b32 v4, v67, v107, s17
	v_perm_b32 v3, v51, v139, s16
	;; [unrolled: 1-line block ×3, first 2 shown]
	v_add_u32_e32 v1, s25, v1
	; sched_group_barrier mask(0x00000008) size(1) SyncID(0)
	; sched_group_barrier mask(0x00000200) size(1) SyncID(0)
	v_mfma_f32_16x16x16f16 a[176:179], v[42:43], v[124:125], a[176:179]
	buffer_load_dwordx4 v[54:57], v2, s[12:15], 0 offen
	v_perm_b32 v2, v67, v107, s16
	; sched_group_barrier mask(0x00000008) size(1) SyncID(0)
	; sched_group_barrier mask(0x00000020) size(1) SyncID(0)
	v_mfma_f32_16x16x16f16 a[164:167], v[42:43], v[134:135], a[164:167]
	v_mfma_f32_16x16x16f16 a[160:163], v[42:43], v[136:137], a[160:163]
	;; [unrolled: 1-line block ×6, first 2 shown]
	ds_read_b128 v[42:45], v153 offset:2560
	v_mfma_f32_16x16x16f16 a[152:155], v[72:73], v[102:103], a[152:155]
	; sched_group_barrier mask(0x00000008) size(7) SyncID(0)
	v_mfma_f32_16x16x16f16 a[148:151], v[70:71], v[100:101], a[148:151]
	ds_read2_b64 v[22:25], v154 offset0:128 offset1:160
	; sched_group_barrier mask(0x00000008) size(1) SyncID(0)
	; sched_group_barrier mask(0x00000100) size(1) SyncID(0)
	v_mfma_f32_16x16x16f16 a[148:151], v[72:73], v[104:105], a[148:151]
	ds_write_b128 v158, v[2:5] offset:16
	v_lshlrev_b32_e32 v2, 1, v1
	v_perm_b32 v4, v68, v108, s17
	v_perm_b32 v3, v52, v140, s16
	;; [unrolled: 1-line block ×3, first 2 shown]
	v_add_u32_e32 v1, s25, v1
	; sched_group_barrier mask(0x00000008) size(1) SyncID(0)
	; sched_group_barrier mask(0x00000200) size(1) SyncID(0)
	v_mfma_f32_16x16x16f16 a[156:159], v[70:71], v[114:115], a[156:159]
	buffer_load_dwordx4 v[58:61], v2, s[12:15], 0 offen
	v_perm_b32 v2, v68, v108, s16
	; sched_group_barrier mask(0x00000008) size(1) SyncID(0)
	; sched_group_barrier mask(0x00000020) size(1) SyncID(0)
	v_mfma_f32_16x16x16f16 a[144:147], v[70:71], v[116:117], a[144:147]
	v_mfma_f32_16x16x16f16 a[140:143], v[70:71], v[122:123], a[140:143]
	;; [unrolled: 1-line block ×7, first 2 shown]
	; sched_group_barrier mask(0x00000008) size(7) SyncID(0)
	v_mfma_f32_16x16x16f16 a[128:131], v[70:71], v[134:135], a[128:131]
	ds_read2_b64 v[30:33], v161 offset0:128 offset1:160
	; sched_group_barrier mask(0x00000008) size(1) SyncID(0)
	; sched_group_barrier mask(0x00000100) size(1) SyncID(0)
	v_mfma_f32_16x16x16f16 a[128:131], v[72:73], v[126:127], a[128:131]
	ds_write_b128 v158, v[2:5] offset:32
	v_lshlrev_b32_e32 v2, 1, v1
	v_perm_b32 v4, v69, v109, s17
	v_perm_b32 v3, v53, v141, s16
	;; [unrolled: 1-line block ×3, first 2 shown]
	v_add_u32_e32 v1, s25, v1
	; sched_group_barrier mask(0x00000008) size(1) SyncID(0)
	; sched_group_barrier mask(0x00000200) size(1) SyncID(0)
	v_mfma_f32_16x16x16f16 a[136:139], v[70:71], v[136:137], a[136:139]
	buffer_load_dwordx4 v[62:65], v2, s[12:15], 0 offen
	v_perm_b32 v2, v69, v109, s16
	; sched_group_barrier mask(0x00000008) size(1) SyncID(0)
	; sched_group_barrier mask(0x00000020) size(1) SyncID(0)
	v_mfma_f32_16x16x16f16 a[124:127], v[38:39], v[98:99], a[124:127]
	v_mfma_f32_16x16x16f16 a[120:123], v[38:39], v[100:101], a[120:123]
	v_mfma_f32_16x16x16f16 a[112:115], v[38:39], v[114:115], a[112:115]
	v_mfma_f32_16x16x16f16 a[136:139], v[72:73], v[128:129], a[136:139]
	v_mfma_f32_16x16x16f16 a[124:127], v[40:41], v[102:103], a[124:127]
	v_mfma_f32_16x16x16f16 a[120:123], v[40:41], v[104:105], a[120:123]
	v_mfma_f32_16x16x16f16 a[112:115], v[40:41], v[118:119], a[112:115]
	; sched_group_barrier mask(0x00000008) size(7) SyncID(0)
	v_mfma_f32_16x16x16f16 a[108:111], v[38:39], v[116:117], a[108:111]
	ds_read2_b64 v[34:37], v154 offset0:192 offset1:224
	; sched_group_barrier mask(0x00000008) size(1) SyncID(0)
	; sched_group_barrier mask(0x00000100) size(1) SyncID(0)
	v_mfma_f32_16x16x16f16 a[108:111], v[40:41], v[120:121], a[108:111]
	ds_write_b128 v158, v[2:5] offset:48
	v_lshlrev_b32_e32 v2, 1, v1
	; sched_group_barrier mask(0x00000008) size(1) SyncID(0)
	; sched_group_barrier mask(0x00000200) size(1) SyncID(0)
	v_mfma_f32_16x16x16f16 a[116:119], v[38:39], v[122:123], a[116:119]
	buffer_load_dwordx4 v[70:73], v2, s[12:15], 0 offen
	; sched_group_barrier mask(0x00000008) size(1) SyncID(0)
	; sched_group_barrier mask(0x00000020) size(1) SyncID(0)
	v_mfma_f32_16x16x16f16 a[104:107], v[38:39], v[124:125], a[104:107]
	v_mfma_f32_16x16x16f16 a[100:103], v[38:39], v[134:135], a[100:103]
	;; [unrolled: 1-line block ×7, first 2 shown]
	ds_read_b128 v[38:41], v153 offset:3072
	; sched_group_barrier mask(0x00000008) size(7) SyncID(0)
	v_mfma_f32_16x16x16f16 a[92:95], v[162:163], v[98:99], a[92:95]
	ds_read2_b64 v[2:5], v161 offset0:192 offset1:224
	; sched_group_barrier mask(0x00000008) size(1) SyncID(0)
	; sched_group_barrier mask(0x00000100) size(1) SyncID(0)
	v_mfma_f32_16x16x16f16 a[92:95], v[164:165], v[102:103], a[92:95]
	; sched_group_barrier mask(0x00000008) size(1) SyncID(0)
	; sched_group_barrier mask(0x00000200) size(1) SyncID(0)
	v_mfma_f32_16x16x16f16 a[88:91], v[162:163], v[100:101], a[88:91]
	; sched_group_barrier mask(0x00000008) size(1) SyncID(0)
	; sched_group_barrier mask(0x00000020) size(1) SyncID(0)
	v_mfma_f32_16x16x16f16 a[84:87], v[162:163], v[114:115], a[84:87]
	v_mfma_f32_16x16x16f16 a[80:83], v[162:163], v[116:117], a[80:83]
	v_mfma_f32_16x16x16f16 a[76:79], v[162:163], v[122:123], a[76:79]
	v_mfma_f32_16x16x16f16 a[88:91], v[164:165], v[104:105], a[88:91]
	v_mfma_f32_16x16x16f16 a[84:87], v[164:165], v[118:119], a[84:87]
	v_mfma_f32_16x16x16f16 a[80:83], v[164:165], v[120:121], a[80:83]
	v_mfma_f32_16x16x16f16 a[76:79], v[164:165], v[130:131], a[76:79]
	; sched_group_barrier mask(0x00000008) size(7) SyncID(0)
	v_mfma_f32_16x16x16f16 a[72:75], v[162:163], v[124:125], a[72:75]
	ds_read_b128 v[74:77], v153 offset:512
	; sched_group_barrier mask(0x00000008) size(1) SyncID(0)
	; sched_group_barrier mask(0x00000100) size(1) SyncID(0)
	v_mfma_f32_16x16x16f16 a[72:75], v[164:165], v[132:133], a[72:75]
	; sched_group_barrier mask(0x00000008) size(1) SyncID(0)
	; sched_group_barrier mask(0x00000200) size(1) SyncID(0)
	v_mfma_f32_16x16x16f16 a[68:71], v[162:163], v[134:135], a[68:71]
	; sched_group_barrier mask(0x00000008) size(1) SyncID(0)
	; sched_group_barrier mask(0x00000020) size(1) SyncID(0)
	v_mfma_f32_16x16x16f16 a[64:67], v[162:163], v[136:137], a[64:67]
	v_mfma_f32_16x16x16f16 a[60:63], v[166:167], v[98:99], a[60:63]
	v_mfma_f32_16x16x16f16 a[56:59], v[166:167], v[100:101], a[56:59]
	v_mfma_f32_16x16x16f16 a[68:71], v[164:165], v[126:127], a[68:71]
	v_mfma_f32_16x16x16f16 a[64:67], v[164:165], v[128:129], a[64:67]
	v_mfma_f32_16x16x16f16 a[60:63], v[168:169], v[102:103], a[60:63]
	v_mfma_f32_16x16x16f16 a[56:59], v[168:169], v[104:105], a[56:59]
	; sched_group_barrier mask(0x00000008) size(7) SyncID(0)
	v_mfma_f32_16x16x16f16 a[52:55], v[166:167], v[114:115], a[52:55]
	ds_read_b128 v[66:69], v153 offset:1024
	;; [unrolled: 18-line block ×3, first 2 shown]
	; sched_group_barrier mask(0x00000008) size(1) SyncID(0)
	; sched_group_barrier mask(0x00000100) size(1) SyncID(0)
	v_mfma_f32_16x16x16f16 a[32:35], v[168:169], v[128:129], a[32:35]
	; sched_group_barrier mask(0x00000008) size(1) SyncID(0)
	; sched_group_barrier mask(0x00000200) size(1) SyncID(0)
	v_mfma_f32_16x16x16f16 a[24:27], v[142:143], v[98:99], a[24:27]
	; sched_group_barrier mask(0x00000008) size(1) SyncID(0)
	; sched_group_barrier mask(0x00000020) size(1) SyncID(0)
	v_mfma_f32_16x16x16f16 a[20:23], v[142:143], v[100:101], a[20:23]
	v_mfma_f32_16x16x16f16 a[16:19], v[142:143], v[114:115], a[16:19]
	v_mfma_f32_16x16x16f16 a[12:15], v[142:143], v[116:117], a[12:15]
	;; [unrolled: 1-line block ×10, first 2 shown]
	; sched_group_barrier mask(0x00000008) size(7) SyncID(0)
	v_mfma_f32_16x16x16f16 a[8:11], v[144:145], v[130:131], a[8:11]
	v_mfma_f32_16x16x16f16 a[4:7], v[144:145], v[132:133], a[4:7]
	;; [unrolled: 1-line block ×4, first 2 shown]
	; sched_barrier mask(0x00000000)
	s_add_i32 s23, s23, 2
	s_cmp_lt_i32 s23, s19
	s_cbranch_scc1 .LBB2_10
; %bb.11:
	s_waitcnt lgkmcnt(0)
	s_barrier
	s_waitcnt vmcnt(5)
	ds_read_b128 v[86:89], v148
	v_mfma_f32_16x16x16f16 a[252:255], v[82:83], v[6:7], a[252:255]
	v_add_u32_e32 v1, 0x4000, v152
	s_mul_i32 s8, s8, s21
	s_mul_hi_u32 s4, s22, s21
	s_add_i32 s4, s4, s8
	; sched_group_barrier mask(0x00000100) size(1) SyncID(0)
	v_mfma_f32_16x16x16f16 a[248:251], v[82:83], v[8:9], a[248:251]
	v_mfma_f32_16x16x16f16 a[244:247], v[82:83], v[10:11], a[244:247]
	;; [unrolled: 1-line block ×5, first 2 shown]
	s_nop 7
	s_nop 1
	v_accvgpr_read_b32 v98, a252
	v_accvgpr_read_b32 v99, a253
	;; [unrolled: 1-line block ×4, first 2 shown]
	v_mfma_f32_16x16x16f16 a[244:247], v[84:85], v[18:19], a[244:247]
	v_accvgpr_read_b32 v102, a248
	v_accvgpr_read_b32 v103, a249
	;; [unrolled: 1-line block ×4, first 2 shown]
	v_mfma_f32_16x16x16f16 a[240:243], v[84:85], v[20:21], a[240:243]
	s_waitcnt vmcnt(3)
	ds_read2_b64 v[54:57], v1 offset1:32
	; sched_group_barrier mask(0x00000008) size(8) SyncID(0)
	; sched_group_barrier mask(0x00000100) size(1) SyncID(0)
	v_mfma_f32_16x16x16f16 a[236:239], v[82:83], v[22:23], a[236:239]
	v_mfma_f32_16x16x16f16 a[232:235], v[82:83], v[24:25], a[232:235]
	;; [unrolled: 1-line block ×4, first 2 shown]
	v_add_u32_e32 v82, 0x800, v151
	v_mfma_f32_16x16x16f16 a[236:239], v[84:85], v[30:31], a[236:239]
	v_mfma_f32_16x16x16f16 a[232:235], v[84:85], v[32:33], a[232:235]
	;; [unrolled: 1-line block ×4, first 2 shown]
	s_waitcnt vmcnt(2)
	ds_read2_b64 v[58:61], v82 offset1:32
	; sched_group_barrier mask(0x00000008) size(8) SyncID(0)
	; sched_group_barrier mask(0x00000100) size(1) SyncID(0)
	v_mfma_f32_16x16x16f16 a[208:211], v[74:75], v[10:11], a[208:211]
	s_nop 7
	v_accvgpr_read_b32 v106, a224
	v_accvgpr_read_b32 v107, a225
	;; [unrolled: 1-line block ×3, first 2 shown]
	v_mfma_f32_16x16x16f16 a[208:211], v[76:77], v[18:19], a[208:211]
	v_accvgpr_read_b32 v109, a227
	v_mfma_f32_16x16x16f16 a[216:219], v[74:75], v[8:9], a[216:219]
	s_nop 7
	s_nop 0
	v_accvgpr_read_b32 v118, a208
	v_accvgpr_read_b32 v119, a209
	;; [unrolled: 1-line block ×4, first 2 shown]
	v_mfma_f32_16x16x16f16 a[212:215], v[74:75], v[12:13], a[212:215]
	v_mfma_f32_16x16x16f16 a[220:223], v[74:75], v[6:7], a[220:223]
	;; [unrolled: 1-line block ×4, first 2 shown]
	s_nop 7
	s_nop 1
	v_accvgpr_read_b32 v114, a216
	v_accvgpr_read_b32 v115, a217
	v_accvgpr_read_b32 v116, a218
	v_accvgpr_read_b32 v117, a219
	v_mfma_f32_16x16x16f16 a[220:223], v[76:77], v[14:15], a[220:223]
	s_waitcnt vmcnt(1)
	ds_read2_b64 v[62:65], v1 offset0:64 offset1:96
	; sched_group_barrier mask(0x00000008) size(8) SyncID(0)
	; sched_group_barrier mask(0x00000100) size(1) SyncID(0)
	v_accvgpr_read_b32 v122, a208
	v_accvgpr_read_b32 v123, a209
	;; [unrolled: 1-line block ×3, first 2 shown]
	v_mfma_f32_16x16x16f16 a[204:207], v[74:75], v[22:23], a[204:207]
	v_accvgpr_read_b32 v125, a211
	s_nop 3
	v_accvgpr_read_b32 v110, a220
	v_accvgpr_read_b32 v111, a221
	;; [unrolled: 1-line block ×3, first 2 shown]
	v_mfma_f32_16x16x16f16 a[200:203], v[74:75], v[24:25], a[200:203]
	v_accvgpr_read_b32 v113, a223
	v_mfma_f32_16x16x16f16 a[196:199], v[74:75], v[34:35], a[196:199]
	v_mfma_f32_16x16x16f16 a[192:195], v[74:75], v[36:37], a[192:195]
	v_mfma_f32_16x16x16f16 a[208:211], v[76:77], v[30:31], a[204:207]
	v_mfma_f32_16x16x16f16 a[212:215], v[76:77], v[32:33], a[200:203]
	v_mfma_f32_16x16x16f16 a[216:219], v[76:77], v[2:3], a[196:199]
	v_mfma_f32_16x16x16f16 a[224:227], v[76:77], v[4:5], a[192:195]
	s_waitcnt vmcnt(0)
	ds_read2_b64 v[70:73], v82 offset0:64 offset1:96
	; sched_group_barrier mask(0x00000008) size(8) SyncID(0)
	; sched_group_barrier mask(0x00000100) size(1) SyncID(0)
	v_mfma_f32_16x16x16f16 a[188:191], v[66:67], v[6:7], a[188:191]
	v_mfma_f32_16x16x16f16 a[184:187], v[66:67], v[8:9], a[184:187]
	;; [unrolled: 1-line block ×8, first 2 shown]
	ds_read2_b64 v[74:77], v1 offset0:128 offset1:160
	; sched_group_barrier mask(0x00000008) size(8) SyncID(0)
	; sched_group_barrier mask(0x00000100) size(1) SyncID(0)
	v_mfma_f32_16x16x16f16 a[164:167], v[66:67], v[34:35], a[164:167]
	v_mfma_f32_16x16x16f16 a[168:171], v[66:67], v[22:23], a[168:171]
	;; [unrolled: 1-line block ×6, first 2 shown]
	s_nop 7
	s_nop 1
	v_accvgpr_read_b32 v130, a164
	v_accvgpr_read_b32 v131, a165
	;; [unrolled: 1-line block ×4, first 2 shown]
	v_mfma_f32_16x16x16f16 a[176:179], v[68:69], v[32:33], a[176:179]
	v_mfma_f32_16x16x16f16 a[252:255], v[68:69], v[4:5], a[160:163]
	ds_read2_b64 v[66:69], v82 offset0:128 offset1:160
	; sched_group_barrier mask(0x00000008) size(8) SyncID(0)
	; sched_group_barrier mask(0x00000100) size(1) SyncID(0)
	s_nop 7
	s_nop 0
	v_accvgpr_read_b32 v126, a176
	v_accvgpr_read_b32 v127, a177
	;; [unrolled: 1-line block ×3, first 2 shown]
	v_mfma_f32_16x16x16f16 a[152:155], v[50:51], v[6:7], a[152:155]
	v_accvgpr_read_b32 v129, a179
	v_mfma_f32_16x16x16f16 a[148:151], v[50:51], v[8:9], a[148:151]
	v_mfma_f32_16x16x16f16 a[156:159], v[50:51], v[10:11], a[156:159]
	;; [unrolled: 1-line block ×7, first 2 shown]
	ds_read2_b64 v[78:81], v1 offset0:192 offset1:224
	; sched_group_barrier mask(0x00000008) size(8) SyncID(0)
	; sched_group_barrier mask(0x00000100) size(1) SyncID(0)
	v_mfma_f32_16x16x16f16 a[140:143], v[50:51], v[22:23], a[140:143]
	v_mfma_f32_16x16x16f16 a[132:135], v[50:51], v[24:25], a[132:135]
	;; [unrolled: 1-line block ×8, first 2 shown]
	ds_read2_b64 v[50:53], v82 offset0:192 offset1:224
	; sched_group_barrier mask(0x00000008) size(8) SyncID(0)
	; sched_group_barrier mask(0x00000100) size(1) SyncID(0)
	v_mfma_f32_16x16x16f16 a[124:127], v[46:47], v[6:7], a[124:127]
	v_mfma_f32_16x16x16f16 a[120:123], v[46:47], v[8:9], a[120:123]
	v_mfma_f32_16x16x16f16 a[112:115], v[46:47], v[10:11], a[112:115]
	v_mfma_f32_16x16x16f16 a[108:111], v[46:47], v[12:13], a[108:111]
	v_mfma_f32_16x16x16f16 a[124:127], v[48:49], v[14:15], a[124:127]
	v_mfma_f32_16x16x16f16 a[136:139], v[48:49], v[16:17], a[120:123]
	v_mfma_f32_16x16x16f16 a[132:135], v[48:49], v[18:19], a[112:115]
	v_mfma_f32_16x16x16f16 a[128:131], v[48:49], v[20:21], a[108:111]
	ds_read_b128 v[82:85], v148 offset:512
	; sched_group_barrier mask(0x00000008) size(8) SyncID(0)
	; sched_group_barrier mask(0x00000100) size(1) SyncID(0)
	v_mfma_f32_16x16x16f16 a[116:119], v[46:47], v[22:23], a[116:119]
	v_mfma_f32_16x16x16f16 a[104:107], v[46:47], v[24:25], a[104:107]
	v_mfma_f32_16x16x16f16 a[100:103], v[46:47], v[34:35], a[100:103]
	v_mfma_f32_16x16x16f16 a[96:99], v[46:47], v[36:37], a[96:99]
	v_mfma_f32_16x16x16f16 a[116:119], v[48:49], v[30:31], a[116:119]
	v_mfma_f32_16x16x16f16 a[120:123], v[48:49], v[32:33], a[104:107]
	v_mfma_f32_16x16x16f16 a[112:115], v[48:49], v[2:3], a[100:103]
	v_mfma_f32_16x16x16f16 a[108:111], v[48:49], v[4:5], a[96:99]
	ds_read_b128 v[46:49], v148 offset:1024
	;; [unrolled: 11-line block ×7, first 2 shown]
	; sched_group_barrier mask(0x00000008) size(8) SyncID(0)
	; sched_group_barrier mask(0x00000100) size(1) SyncID(0)
	v_mfma_f32_16x16x16f16 a[8:11], v[26:27], v[22:23], a[8:11]
	v_mfma_f32_16x16x16f16 a[4:7], v[26:27], v[24:25], a[4:7]
	;; [unrolled: 1-line block ×8, first 2 shown]
	; sched_group_barrier mask(0x00000008) size(8) SyncID(0)
	; sched_barrier mask(0x00000000)
	s_nop 5
	v_accvgpr_write_b32 a0, v98
	v_accvgpr_write_b32 a1, v99
	;; [unrolled: 1-line block ×6, first 2 shown]
	s_waitcnt lgkmcnt(14)
	v_mfma_f32_16x16x16f16 a[28:31], v[86:87], v[54:55], a[0:3]
	v_accvgpr_write_b32 a6, v104
	v_accvgpr_write_b32 a7, v105
	s_waitcnt lgkmcnt(13)
	v_mfma_f32_16x16x16f16 a[0:3], v[88:89], v[58:59], a[28:31]
	v_mfma_f32_16x16x16f16 a[28:31], v[86:87], v[56:57], a[4:7]
	v_mfma_f32_16x16x16f16 a[4:7], v[88:89], v[60:61], a[28:31]
	s_waitcnt lgkmcnt(12)
	v_mfma_f32_16x16x16f16 a[28:31], v[86:87], v[62:63], a[244:247]
	s_waitcnt lgkmcnt(11)
	v_mfma_f32_16x16x16f16 a[244:247], v[88:89], v[70:71], a[28:31]
	v_mfma_f32_16x16x16f16 a[28:31], v[86:87], v[64:65], a[240:243]
	v_mfma_f32_16x16x16f16 a[240:243], v[88:89], v[72:73], a[28:31]
	s_waitcnt lgkmcnt(10)
	v_mfma_f32_16x16x16f16 a[28:31], v[86:87], v[74:75], a[236:239]
	s_waitcnt lgkmcnt(9)
	v_mfma_f32_16x16x16f16 a[236:239], v[88:89], v[66:67], a[28:31]
	v_mfma_f32_16x16x16f16 a[28:31], v[86:87], v[76:77], a[232:235]
	v_mfma_f32_16x16x16f16 a[232:235], v[88:89], v[68:69], a[28:31]
	s_waitcnt lgkmcnt(8)
	v_mfma_f32_16x16x16f16 a[28:31], v[86:87], v[78:79], a[228:231]
	s_waitcnt lgkmcnt(7)
	v_mfma_f32_16x16x16f16 a[228:231], v[88:89], v[50:51], a[28:31]
	s_nop 7
	s_nop 0
	v_accvgpr_write_b32 a28, v106
	v_accvgpr_write_b32 a29, v107
	;; [unrolled: 1-line block ×4, first 2 shown]
	s_waitcnt lgkmcnt(2)
	v_mfma_f32_16x16x16f16 a[92:95], v[94:95], v[54:55], a[92:95]
	v_mfma_f32_16x16x16f16 a[28:31], v[86:87], v[80:81], a[28:31]
	;; [unrolled: 1-line block ×3, first 2 shown]
	s_nop 7
	s_nop 1
	v_accvgpr_write_b32 a28, v110
	v_accvgpr_write_b32 a29, v111
	;; [unrolled: 1-line block ×4, first 2 shown]
	v_mfma_f32_16x16x16f16 a[92:95], v[96:97], v[58:59], a[92:95]
	s_nop 0
	v_mfma_f32_16x16x16f16 a[28:31], v[82:83], v[54:55], a[28:31]
	s_nop 7
	s_nop 0
	v_accvgpr_read_b32 v10, a92
	v_accvgpr_read_b32 v11, a93
	;; [unrolled: 1-line block ×4, first 2 shown]
	v_mfma_f32_16x16x16f16 a[188:191], v[84:85], v[58:59], a[28:31]
	s_nop 6
	v_accvgpr_write_b32 a28, v114
	v_accvgpr_write_b32 a29, v115
	;; [unrolled: 1-line block ×4, first 2 shown]
	v_mfma_f32_16x16x16f16 a[164:167], v[90:91], v[56:57], a[164:167]
	s_nop 0
	v_mfma_f32_16x16x16f16 a[28:31], v[82:83], v[56:57], a[28:31]
	v_mfma_f32_16x16x16f16 a[196:199], v[84:85], v[60:61], a[28:31]
	s_nop 7
	s_nop 1
	v_accvgpr_write_b32 a28, v118
	v_accvgpr_write_b32 a29, v119
	;; [unrolled: 1-line block ×4, first 2 shown]
	v_mfma_f32_16x16x16f16 a[92:95], v[94:95], v[56:57], a[104:107]
	s_nop 0
	v_mfma_f32_16x16x16f16 a[28:31], v[82:83], v[62:63], a[28:31]
	v_mfma_f32_16x16x16f16 a[200:203], v[84:85], v[70:71], a[28:31]
	s_nop 7
	s_nop 1
	v_accvgpr_write_b32 a28, v122
	v_accvgpr_write_b32 a29, v123
	;; [unrolled: 1-line block ×4, first 2 shown]
	v_mfma_f32_16x16x16f16 a[164:167], v[92:93], v[60:61], a[164:167]
	s_nop 0
	v_mfma_f32_16x16x16f16 a[28:31], v[82:83], v[64:65], a[28:31]
	s_nop 7
	s_nop 0
	v_accvgpr_read_b32 v18, a164
	v_accvgpr_read_b32 v19, a165
	v_accvgpr_read_b32 v20, a166
	v_accvgpr_read_b32 v21, a167
	v_mfma_f32_16x16x16f16 a[204:207], v[84:85], v[72:73], a[28:31]
	v_mfma_f32_16x16x16f16 a[28:31], v[82:83], v[74:75], a[208:211]
	;; [unrolled: 1-line block ×27, first 2 shown]
	s_nop 7
	s_nop 1
	v_accvgpr_read_b32 v14, a248
	v_accvgpr_read_b32 v15, a249
	v_accvgpr_read_b32 v16, a250
	v_accvgpr_read_b32 v17, a251
	v_mfma_f32_16x16x16f16 a[148:151], v[92:93], v[68:69], a[140:143]
	v_mfma_f32_16x16x16f16 a[140:143], v[90:91], v[78:79], a[144:147]
	;; [unrolled: 1-line block ×23, first 2 shown]
	s_waitcnt lgkmcnt(1)
	v_mfma_f32_16x16x16f16 a[60:63], v[38:39], v[54:55], a[60:63]
	v_mfma_f32_16x16x16f16 a[68:71], v[38:39], v[62:63], a[68:71]
	;; [unrolled: 1-line block ×3, first 2 shown]
	s_waitcnt lgkmcnt(0)
	v_mfma_f32_16x16x16f16 a[24:27], v[6:7], v[54:55], a[24:27]
	v_mfma_f32_16x16x16f16 a[176:179], v[48:49], v[72:73], a[28:31]
	;; [unrolled: 1-line block ×11, first 2 shown]
	s_nop 6
	v_accvgpr_write_b32 a28, v126
	v_accvgpr_write_b32 a29, v127
	;; [unrolled: 1-line block ×4, first 2 shown]
	v_mfma_f32_16x16x16f16 a[64:67], v[38:39], v[64:65], a[64:67]
	s_nop 0
	v_mfma_f32_16x16x16f16 a[28:31], v[46:47], v[76:77], a[28:31]
	v_mfma_f32_16x16x16f16 a[48:51], v[38:39], v[80:81], a[48:51]
	;; [unrolled: 1-line block ×5, first 2 shown]
	s_nop 6
	v_accvgpr_write_b32 a28, v130
	v_accvgpr_write_b32 a29, v131
	;; [unrolled: 1-line block ×4, first 2 shown]
	v_mfma_f32_16x16x16f16 a[252:255], v[46:47], v[80:81], a[252:255]
	s_nop 0
	v_mfma_f32_16x16x16f16 a[28:31], v[46:47], v[78:79], a[28:31]
	v_mfma_f32_16x16x16f16 a[128:131], v[42:43], v[64:65], a[128:131]
	;; [unrolled: 1-line block ×17, first 2 shown]
	; sched_group_barrier mask(0x00000008) size(64) SyncID(0)
	v_mfma_f32_16x16x16f16 a[124:127], v[44:45], v[60:61], a[124:127]
	v_mfma_f32_16x16x16f16 a[128:131], v[44:45], v[72:73], a[128:131]
	;; [unrolled: 1-line block ×12, first 2 shown]
	; sched_barrier mask(0x00000000)
	v_and_b32_e32 v1, 15, v0
	v_lshrrev_b32_e32 v2, 2, v0
	v_lshlrev_b32_e32 v3, 2, v0
	s_movk_i32 s5, 0x180
	v_and_b32_e32 v2, 16, v2
	v_and_b32_e32 v4, 0x200, v3
	v_and_or_b32 v1, v147, s5, v1
	v_or3_b32 v2, v1, v4, v2
	v_lshrrev_b32_e32 v4, 3, v0
	v_and_b32_e32 v3, 28, v3
	v_or_b32_e32 v0, s3, v3
	v_lshl_or_b32 v1, s2, 8, v4
	v_mad_u64_u32 v[0:1], s[2:3], v1, s21, v[0:1]
	v_accvgpr_read_b32 v1, a0
	v_cvt_f16_f32_e32 v5, v1
	v_lshlrev_b32_e32 v1, 1, v2
	v_accvgpr_read_b32 v2, a1
	v_cvt_f16_f32_e32 v2, v2
	v_accvgpr_read_b32 v6, a2
	v_accvgpr_read_b32 v7, a3
	v_cvt_f16_f32_e32 v6, v6
	v_cvt_f16_f32_e32 v7, v7
	s_waitcnt lgkmcnt(0)
	s_barrier
	ds_write_b16 v1, v2 offset:64
	v_lshlrev_b32_e32 v2, 1, v3
	v_lshl_or_b32 v2, v4, 6, v2
	ds_write_b16 v1, v5
	ds_write_b16 v1, v6 offset:128
	ds_write_b16 v1, v7 offset:192
	s_waitcnt lgkmcnt(0)
	s_barrier
	ds_read_b64 v[4:5], v2
	s_add_i32 s2, s9, s4
	s_lshl_b32 s2, s2, 1
	s_mov_b32 s3, 0x20000
	v_lshlrev_b32_e32 v3, 1, v0
	s_waitcnt lgkmcnt(0)
	buffer_store_dwordx2 v[4:5], v3, s[0:3], 0 offen
	v_accvgpr_read_b32 v4, a4
	v_accvgpr_read_b32 v5, a5
	;; [unrolled: 1-line block ×4, first 2 shown]
	v_cvt_f16_f32_e32 v4, v4
	v_cvt_f16_f32_e32 v5, v5
	;; [unrolled: 1-line block ×4, first 2 shown]
	s_waitcnt lgkmcnt(0)
	s_barrier
	ds_write_b16 v1, v4
	ds_write_b16 v1, v5 offset:64
	ds_write_b16 v1, v6 offset:128
	ds_write_b16 v1, v7 offset:192
	s_waitcnt lgkmcnt(0)
	s_barrier
	ds_read_b64 v[4:5], v2
	v_accvgpr_read_b32 v6, a246
	v_accvgpr_read_b32 v7, a247
	v_cvt_f16_f32_e32 v6, v6
	v_cvt_f16_f32_e32 v7, v7
	s_waitcnt lgkmcnt(0)
	buffer_store_dwordx2 v[4:5], v3, s[0:3], 0 offen offset:64
	v_accvgpr_read_b32 v4, a244
	v_accvgpr_read_b32 v5, a245
	v_cvt_f16_f32_e32 v4, v4
	v_cvt_f16_f32_e32 v5, v5
	s_waitcnt lgkmcnt(0)
	s_barrier
	ds_write_b16 v1, v4
	ds_write_b16 v1, v5 offset:64
	ds_write_b16 v1, v6 offset:128
	ds_write_b16 v1, v7 offset:192
	s_waitcnt lgkmcnt(0)
	s_barrier
	ds_read_b64 v[4:5], v2
	v_accvgpr_read_b32 v6, a242
	v_accvgpr_read_b32 v7, a243
	v_cvt_f16_f32_e32 v6, v6
	v_cvt_f16_f32_e32 v7, v7
	s_waitcnt lgkmcnt(0)
	buffer_store_dwordx2 v[4:5], v3, s[0:3], 0 offen offset:128
	v_accvgpr_read_b32 v4, a240
	v_accvgpr_read_b32 v5, a241
	v_cvt_f16_f32_e32 v4, v4
	v_cvt_f16_f32_e32 v5, v5
	s_waitcnt lgkmcnt(0)
	s_barrier
	ds_write_b16 v1, v4
	ds_write_b16 v1, v5 offset:64
	ds_write_b16 v1, v6 offset:128
	ds_write_b16 v1, v7 offset:192
	s_waitcnt lgkmcnt(0)
	s_barrier
	ds_read_b64 v[4:5], v2
	v_accvgpr_read_b32 v6, a238
	v_accvgpr_read_b32 v7, a239
	v_cvt_f16_f32_e32 v6, v6
	v_cvt_f16_f32_e32 v7, v7
	s_waitcnt lgkmcnt(0)
	buffer_store_dwordx2 v[4:5], v3, s[0:3], 0 offen offset:192
	v_accvgpr_read_b32 v4, a236
	v_accvgpr_read_b32 v5, a237
	v_cvt_f16_f32_e32 v4, v4
	v_cvt_f16_f32_e32 v5, v5
	s_waitcnt lgkmcnt(0)
	s_barrier
	ds_write_b16 v1, v4
	ds_write_b16 v1, v5 offset:64
	ds_write_b16 v1, v6 offset:128
	ds_write_b16 v1, v7 offset:192
	s_waitcnt lgkmcnt(0)
	s_barrier
	ds_read_b64 v[4:5], v2
	v_accvgpr_read_b32 v6, a234
	v_accvgpr_read_b32 v7, a235
	v_cvt_f16_f32_e32 v6, v6
	v_cvt_f16_f32_e32 v7, v7
	s_waitcnt lgkmcnt(0)
	buffer_store_dwordx2 v[4:5], v3, s[0:3], 0 offen offset:256
	v_accvgpr_read_b32 v4, a232
	v_accvgpr_read_b32 v5, a233
	v_cvt_f16_f32_e32 v4, v4
	v_cvt_f16_f32_e32 v5, v5
	s_waitcnt lgkmcnt(0)
	s_barrier
	ds_write_b16 v1, v4
	ds_write_b16 v1, v5 offset:64
	ds_write_b16 v1, v6 offset:128
	ds_write_b16 v1, v7 offset:192
	s_waitcnt lgkmcnt(0)
	s_barrier
	ds_read_b64 v[4:5], v2
	v_accvgpr_read_b32 v6, a230
	v_accvgpr_read_b32 v7, a231
	v_cvt_f16_f32_e32 v6, v6
	v_cvt_f16_f32_e32 v7, v7
	s_waitcnt lgkmcnt(0)
	buffer_store_dwordx2 v[4:5], v3, s[0:3], 0 offen offset:320
	v_accvgpr_read_b32 v4, a228
	v_accvgpr_read_b32 v5, a229
	v_cvt_f16_f32_e32 v4, v4
	v_cvt_f16_f32_e32 v5, v5
	s_waitcnt lgkmcnt(0)
	s_barrier
	ds_write_b16 v1, v4
	ds_write_b16 v1, v5 offset:64
	ds_write_b16 v1, v6 offset:128
	;; [unrolled: 1-line block ×3, first 2 shown]
	s_waitcnt lgkmcnt(0)
	s_barrier
	ds_read_b64 v[4:5], v2
	v_accvgpr_read_b32 v6, a223
	v_cvt_f16_f32_e32 v6, v6
	v_accvgpr_read_b32 v7, a227
	v_cvt_f16_f32_e32 v7, v7
	s_waitcnt lgkmcnt(0)
	buffer_store_dwordx2 v[4:5], v3, s[0:3], 0 offen offset:384
	v_accvgpr_read_b32 v3, a220
	v_accvgpr_read_b32 v4, a221
	;; [unrolled: 1-line block ×3, first 2 shown]
	v_cvt_f16_f32_e32 v3, v3
	v_cvt_f16_f32_e32 v4, v4
	v_cvt_f16_f32_e32 v5, v5
	s_waitcnt lgkmcnt(0)
	s_barrier
	ds_write_b16 v1, v3
	ds_write_b16 v1, v4 offset:64
	ds_write_b16 v1, v5 offset:128
	;; [unrolled: 1-line block ×3, first 2 shown]
	s_waitcnt lgkmcnt(0)
	s_barrier
	ds_read_b64 v[4:5], v2
	v_add_u32_e32 v3, 0xe0, v0
	v_lshlrev_b32_e32 v6, 1, v3
	s_lshl_b32 s4, s21, 5
	v_add_lshl_u32 v3, v3, s4, 1
	s_waitcnt lgkmcnt(0)
	buffer_store_dwordx2 v[4:5], v6, s[0:3], 0 offen
	v_accvgpr_read_b32 v4, a224
	v_accvgpr_read_b32 v5, a225
	;; [unrolled: 1-line block ×3, first 2 shown]
	v_cvt_f16_f32_e32 v4, v4
	v_cvt_f16_f32_e32 v5, v5
	;; [unrolled: 1-line block ×3, first 2 shown]
	s_waitcnt lgkmcnt(0)
	s_barrier
	ds_write_b16 v1, v4
	ds_write_b16 v1, v5 offset:64
	ds_write_b16 v1, v6 offset:128
	;; [unrolled: 1-line block ×3, first 2 shown]
	s_waitcnt lgkmcnt(0)
	s_barrier
	ds_read_b64 v[4:5], v2
	v_accvgpr_read_b32 v6, a218
	v_accvgpr_read_b32 v7, a219
	v_cvt_f16_f32_e32 v6, v6
	v_cvt_f16_f32_e32 v7, v7
	s_waitcnt lgkmcnt(0)
	buffer_store_dwordx2 v[4:5], v3, s[0:3], 0 offen
	v_accvgpr_read_b32 v4, a216
	v_accvgpr_read_b32 v5, a217
	v_cvt_f16_f32_e32 v4, v4
	v_cvt_f16_f32_e32 v5, v5
	s_waitcnt lgkmcnt(0)
	s_barrier
	ds_write_b16 v1, v4
	ds_write_b16 v1, v5 offset:64
	ds_write_b16 v1, v6 offset:128
	;; [unrolled: 1-line block ×3, first 2 shown]
	s_waitcnt lgkmcnt(0)
	s_barrier
	ds_read_b64 v[4:5], v2
	v_subrev_u32_e32 v6, 64, v3
	v_accvgpr_read_b32 v7, a215
	v_cvt_f16_f32_e32 v7, v7
	v_add_u32_e32 v0, s4, v0
	s_waitcnt lgkmcnt(0)
	buffer_store_dwordx2 v[4:5], v6, s[0:3], 0 offen
	v_accvgpr_read_b32 v4, a212
	v_accvgpr_read_b32 v5, a213
	v_accvgpr_read_b32 v6, a214
	v_cvt_f16_f32_e32 v4, v4
	v_cvt_f16_f32_e32 v5, v5
	v_cvt_f16_f32_e32 v6, v6
	s_waitcnt lgkmcnt(0)
	s_barrier
	ds_write_b16 v1, v4
	ds_write_b16 v1, v5 offset:64
	ds_write_b16 v1, v6 offset:128
	ds_write_b16 v1, v7 offset:192
	s_waitcnt lgkmcnt(0)
	s_barrier
	ds_read_b64 v[4:5], v2
	v_add_u32_e32 v6, 0xffffff80, v3
	v_accvgpr_read_b32 v7, a211
	v_cvt_f16_f32_e32 v7, v7
	s_waitcnt lgkmcnt(0)
	buffer_store_dwordx2 v[4:5], v6, s[0:3], 0 offen
	v_accvgpr_read_b32 v4, a208
	v_accvgpr_read_b32 v5, a209
	v_accvgpr_read_b32 v6, a210
	v_cvt_f16_f32_e32 v4, v4
	v_cvt_f16_f32_e32 v5, v5
	v_cvt_f16_f32_e32 v6, v6
	s_waitcnt lgkmcnt(0)
	s_barrier
	ds_write_b16 v1, v4
	ds_write_b16 v1, v5 offset:64
	ds_write_b16 v1, v6 offset:128
	ds_write_b16 v1, v7 offset:192
	s_waitcnt lgkmcnt(0)
	s_barrier
	ds_read_b64 v[4:5], v2
	v_add_u32_e32 v6, 0xffffff40, v3
	v_accvgpr_read_b32 v7, a207
	v_cvt_f16_f32_e32 v7, v7
	;; [unrolled: 20-line block ×4, first 2 shown]
	v_add_u32_e32 v3, 0xfffffe80, v3
	s_waitcnt lgkmcnt(0)
	buffer_store_dwordx2 v[4:5], v6, s[0:3], 0 offen
	v_accvgpr_read_b32 v4, a196
	v_accvgpr_read_b32 v5, a197
	;; [unrolled: 1-line block ×3, first 2 shown]
	v_cvt_f16_f32_e32 v4, v4
	v_cvt_f16_f32_e32 v5, v5
	;; [unrolled: 1-line block ×3, first 2 shown]
	s_waitcnt lgkmcnt(0)
	s_barrier
	ds_write_b16 v1, v4
	ds_write_b16 v1, v5 offset:64
	ds_write_b16 v1, v6 offset:128
	;; [unrolled: 1-line block ×3, first 2 shown]
	s_waitcnt lgkmcnt(0)
	s_barrier
	ds_read_b64 v[4:5], v2
	v_accvgpr_read_b32 v6, a191
	v_cvt_f16_f32_e32 v6, v6
	v_accvgpr_read_b32 v7, a187
	v_cvt_f16_f32_e32 v7, v7
	s_waitcnt lgkmcnt(0)
	buffer_store_dwordx2 v[4:5], v3, s[0:3], 0 offen
	v_accvgpr_read_b32 v3, a188
	v_accvgpr_read_b32 v4, a189
	;; [unrolled: 1-line block ×3, first 2 shown]
	v_cvt_f16_f32_e32 v3, v3
	v_cvt_f16_f32_e32 v4, v4
	v_cvt_f16_f32_e32 v5, v5
	s_waitcnt lgkmcnt(0)
	s_barrier
	ds_write_b16 v1, v3
	ds_write_b16 v1, v4 offset:64
	ds_write_b16 v1, v5 offset:128
	;; [unrolled: 1-line block ×3, first 2 shown]
	s_waitcnt lgkmcnt(0)
	s_barrier
	ds_read_b64 v[4:5], v2
	v_lshlrev_b32_e32 v3, 1, v0
	v_accvgpr_read_b32 v6, a195
	v_cvt_f16_f32_e32 v6, v6
	v_add_u32_e32 v0, s4, v0
	s_waitcnt lgkmcnt(0)
	buffer_store_dwordx2 v[4:5], v3, s[0:3], 0 offen
	v_accvgpr_read_b32 v3, a192
	v_accvgpr_read_b32 v4, a193
	;; [unrolled: 1-line block ×3, first 2 shown]
	v_cvt_f16_f32_e32 v3, v3
	v_cvt_f16_f32_e32 v4, v4
	;; [unrolled: 1-line block ×3, first 2 shown]
	s_waitcnt lgkmcnt(0)
	s_barrier
	ds_write_b16 v1, v3
	ds_write_b16 v1, v4 offset:64
	ds_write_b16 v1, v5 offset:128
	;; [unrolled: 1-line block ×3, first 2 shown]
	s_waitcnt lgkmcnt(0)
	s_barrier
	ds_read_b64 v[4:5], v2
	v_lshlrev_b32_e32 v3, 1, v0
	v_accvgpr_read_b32 v6, a186
	v_cvt_f16_f32_e32 v6, v6
	s_waitcnt lgkmcnt(0)
	buffer_store_dwordx2 v[4:5], v3, s[0:3], 0 offen
	v_accvgpr_read_b32 v4, a184
	v_accvgpr_read_b32 v5, a185
	v_cvt_f16_f32_e32 v4, v4
	v_cvt_f16_f32_e32 v5, v5
	s_waitcnt lgkmcnt(0)
	s_barrier
	ds_write_b16 v1, v4
	ds_write_b16 v1, v5 offset:64
	ds_write_b16 v1, v6 offset:128
	ds_write_b16 v1, v7 offset:192
	s_waitcnt lgkmcnt(0)
	s_barrier
	ds_read_b64 v[4:5], v2
	v_accvgpr_read_b32 v6, a182
	v_accvgpr_read_b32 v7, a183
	v_cvt_f16_f32_e32 v6, v6
	v_cvt_f16_f32_e32 v7, v7
	s_waitcnt lgkmcnt(0)
	buffer_store_dwordx2 v[4:5], v3, s[0:3], 0 offen offset:64
	v_accvgpr_read_b32 v4, a180
	v_accvgpr_read_b32 v5, a181
	v_cvt_f16_f32_e32 v4, v4
	v_cvt_f16_f32_e32 v5, v5
	s_waitcnt lgkmcnt(0)
	s_barrier
	ds_write_b16 v1, v4
	ds_write_b16 v1, v5 offset:64
	ds_write_b16 v1, v6 offset:128
	ds_write_b16 v1, v7 offset:192
	s_waitcnt lgkmcnt(0)
	s_barrier
	ds_read_b64 v[4:5], v2
	v_accvgpr_read_b32 v6, a178
	v_accvgpr_read_b32 v7, a179
	v_cvt_f16_f32_e32 v6, v6
	v_cvt_f16_f32_e32 v7, v7
	s_waitcnt lgkmcnt(0)
	buffer_store_dwordx2 v[4:5], v3, s[0:3], 0 offen offset:128
	;; [unrolled: 19-line block ×5, first 2 shown]
	v_accvgpr_read_b32 v4, a28
	v_accvgpr_read_b32 v5, a29
	v_cvt_f16_f32_e32 v4, v4
	v_cvt_f16_f32_e32 v5, v5
	s_waitcnt lgkmcnt(0)
	s_barrier
	ds_write_b16 v1, v4
	ds_write_b16 v1, v5 offset:64
	ds_write_b16 v1, v6 offset:128
	;; [unrolled: 1-line block ×3, first 2 shown]
	s_waitcnt lgkmcnt(0)
	s_barrier
	ds_read_b64 v[4:5], v2
	v_accvgpr_read_b32 v6, a255
	v_cvt_f16_f32_e32 v6, v6
	v_accvgpr_read_b32 v7, a163
	v_cvt_f16_f32_e32 v7, v7
	s_waitcnt lgkmcnt(0)
	buffer_store_dwordx2 v[4:5], v3, s[0:3], 0 offen offset:384
	v_accvgpr_read_b32 v3, a252
	v_accvgpr_read_b32 v4, a253
	;; [unrolled: 1-line block ×3, first 2 shown]
	v_cvt_f16_f32_e32 v3, v3
	v_cvt_f16_f32_e32 v4, v4
	;; [unrolled: 1-line block ×3, first 2 shown]
	s_waitcnt lgkmcnt(0)
	s_barrier
	ds_write_b16 v1, v3
	ds_write_b16 v1, v4 offset:64
	ds_write_b16 v1, v5 offset:128
	;; [unrolled: 1-line block ×3, first 2 shown]
	s_waitcnt lgkmcnt(0)
	s_barrier
	ds_read_b64 v[4:5], v2
	v_add_u32_e32 v3, 0xe0, v0
	v_lshlrev_b32_e32 v6, 1, v3
	v_add_lshl_u32 v3, v3, s4, 1
	v_add_u32_e32 v0, s4, v0
	s_waitcnt lgkmcnt(0)
	buffer_store_dwordx2 v[4:5], v6, s[0:3], 0 offen
	v_accvgpr_read_b32 v4, a160
	v_accvgpr_read_b32 v5, a161
	;; [unrolled: 1-line block ×3, first 2 shown]
	v_cvt_f16_f32_e32 v4, v4
	v_cvt_f16_f32_e32 v5, v5
	;; [unrolled: 1-line block ×3, first 2 shown]
	s_waitcnt lgkmcnt(0)
	s_barrier
	ds_write_b16 v1, v4
	ds_write_b16 v1, v5 offset:64
	ds_write_b16 v1, v6 offset:128
	;; [unrolled: 1-line block ×3, first 2 shown]
	s_waitcnt lgkmcnt(0)
	s_barrier
	ds_read_b64 v[4:5], v2
	v_accvgpr_read_b32 v6, a142
	v_accvgpr_read_b32 v7, a143
	v_cvt_f16_f32_e32 v6, v6
	v_cvt_f16_f32_e32 v7, v7
	s_waitcnt lgkmcnt(0)
	buffer_store_dwordx2 v[4:5], v3, s[0:3], 0 offen
	v_accvgpr_read_b32 v4, a140
	v_accvgpr_read_b32 v5, a141
	v_cvt_f16_f32_e32 v4, v4
	v_cvt_f16_f32_e32 v5, v5
	s_waitcnt lgkmcnt(0)
	s_barrier
	ds_write_b16 v1, v4
	ds_write_b16 v1, v5 offset:64
	ds_write_b16 v1, v6 offset:128
	ds_write_b16 v1, v7 offset:192
	s_waitcnt lgkmcnt(0)
	s_barrier
	ds_read_b64 v[4:5], v2
	v_subrev_u32_e32 v6, 64, v3
	v_accvgpr_read_b32 v7, a151
	v_cvt_f16_f32_e32 v7, v7
	s_waitcnt lgkmcnt(0)
	buffer_store_dwordx2 v[4:5], v6, s[0:3], 0 offen
	v_accvgpr_read_b32 v4, a148
	v_accvgpr_read_b32 v5, a149
	v_accvgpr_read_b32 v6, a150
	v_cvt_f16_f32_e32 v4, v4
	v_cvt_f16_f32_e32 v5, v5
	v_cvt_f16_f32_e32 v6, v6
	s_waitcnt lgkmcnt(0)
	s_barrier
	ds_write_b16 v1, v4
	ds_write_b16 v1, v5 offset:64
	ds_write_b16 v1, v6 offset:128
	ds_write_b16 v1, v7 offset:192
	s_waitcnt lgkmcnt(0)
	s_barrier
	ds_read_b64 v[4:5], v2
	v_add_u32_e32 v6, 0xffffff80, v3
	v_accvgpr_read_b32 v7, a167
	v_cvt_f16_f32_e32 v7, v7
	s_waitcnt lgkmcnt(0)
	buffer_store_dwordx2 v[4:5], v6, s[0:3], 0 offen
	v_accvgpr_read_b32 v4, a164
	v_accvgpr_read_b32 v5, a165
	v_accvgpr_read_b32 v6, a166
	v_cvt_f16_f32_e32 v4, v4
	v_cvt_f16_f32_e32 v5, v5
	v_cvt_f16_f32_e32 v6, v6
	s_waitcnt lgkmcnt(0)
	s_barrier
	ds_write_b16 v1, v4
	ds_write_b16 v1, v5 offset:64
	ds_write_b16 v1, v6 offset:128
	ds_write_b16 v1, v7 offset:192
	s_waitcnt lgkmcnt(0)
	s_barrier
	ds_read_b64 v[4:5], v2
	v_add_u32_e32 v6, 0xffffff40, v3
	;; [unrolled: 20-line block ×4, first 2 shown]
	v_add_u32_e32 v3, 0xfffffe80, v3
	s_waitcnt lgkmcnt(0)
	buffer_store_dwordx2 v[4:5], v6, s[0:3], 0 offen
	v_pk_mov_b32 v[4:5], v[18:19], v[18:19] op_sel:[0,1]
	v_pk_mov_b32 v[6:7], v[20:21], v[20:21] op_sel:[0,1]
	v_cvt_f16_f32_e32 v4, v4
	v_cvt_f16_f32_e32 v5, v5
	;; [unrolled: 1-line block ×4, first 2 shown]
	s_waitcnt lgkmcnt(0)
	s_barrier
	ds_write_b16 v1, v4
	ds_write_b16 v1, v5 offset:64
	ds_write_b16 v1, v6 offset:128
	;; [unrolled: 1-line block ×3, first 2 shown]
	s_waitcnt lgkmcnt(0)
	s_barrier
	ds_read_b64 v[4:5], v2
	s_waitcnt lgkmcnt(0)
	buffer_store_dwordx2 v[4:5], v3, s[0:3], 0 offen
	v_pk_mov_b32 v[4:5], v[14:15], v[14:15] op_sel:[0,1]
	v_pk_mov_b32 v[6:7], v[16:17], v[16:17] op_sel:[0,1]
	v_mov_b32_e32 v3, v4
	v_mov_b32_e32 v4, v5
	;; [unrolled: 1-line block ×4, first 2 shown]
	v_cvt_f16_f32_e32 v3, v3
	v_cvt_f16_f32_e32 v4, v4
	;; [unrolled: 1-line block ×4, first 2 shown]
	s_waitcnt lgkmcnt(0)
	s_barrier
	ds_write_b16 v1, v3
	ds_write_b16 v1, v4 offset:64
	ds_write_b16 v1, v5 offset:128
	;; [unrolled: 1-line block ×3, first 2 shown]
	s_waitcnt lgkmcnt(0)
	s_barrier
	ds_read_b64 v[4:5], v2
	v_lshlrev_b32_e32 v3, 1, v0
	v_accvgpr_read_b32 v6, a155
	v_cvt_f16_f32_e32 v6, v6
	v_add_u32_e32 v0, s4, v0
	s_waitcnt lgkmcnt(0)
	buffer_store_dwordx2 v[4:5], v3, s[0:3], 0 offen
	v_accvgpr_read_b32 v3, a152
	v_accvgpr_read_b32 v4, a153
	;; [unrolled: 1-line block ×3, first 2 shown]
	v_cvt_f16_f32_e32 v3, v3
	v_cvt_f16_f32_e32 v4, v4
	;; [unrolled: 1-line block ×3, first 2 shown]
	s_waitcnt lgkmcnt(0)
	s_barrier
	ds_write_b16 v1, v3
	ds_write_b16 v1, v4 offset:64
	ds_write_b16 v1, v5 offset:128
	;; [unrolled: 1-line block ×3, first 2 shown]
	s_waitcnt lgkmcnt(0)
	s_barrier
	ds_read_b64 v[4:5], v2
	v_lshlrev_b32_e32 v3, 1, v0
	v_accvgpr_read_b32 v6, a126
	v_accvgpr_read_b32 v7, a127
	v_cvt_f16_f32_e32 v6, v6
	s_waitcnt lgkmcnt(0)
	buffer_store_dwordx2 v[4:5], v3, s[0:3], 0 offen
	v_accvgpr_read_b32 v4, a124
	v_accvgpr_read_b32 v5, a125
	v_cvt_f16_f32_e32 v4, v4
	v_cvt_f16_f32_e32 v5, v5
	;; [unrolled: 1-line block ×3, first 2 shown]
	s_waitcnt lgkmcnt(0)
	s_barrier
	ds_write_b16 v1, v4
	ds_write_b16 v1, v5 offset:64
	ds_write_b16 v1, v6 offset:128
	ds_write_b16 v1, v7 offset:192
	s_waitcnt lgkmcnt(0)
	s_barrier
	ds_read_b64 v[4:5], v2
	v_accvgpr_read_b32 v6, a138
	v_accvgpr_read_b32 v7, a139
	v_cvt_f16_f32_e32 v6, v6
	v_cvt_f16_f32_e32 v7, v7
	s_waitcnt lgkmcnt(0)
	buffer_store_dwordx2 v[4:5], v3, s[0:3], 0 offen offset:64
	v_accvgpr_read_b32 v4, a136
	v_accvgpr_read_b32 v5, a137
	v_cvt_f16_f32_e32 v4, v4
	v_cvt_f16_f32_e32 v5, v5
	s_waitcnt lgkmcnt(0)
	s_barrier
	ds_write_b16 v1, v4
	ds_write_b16 v1, v5 offset:64
	ds_write_b16 v1, v6 offset:128
	ds_write_b16 v1, v7 offset:192
	s_waitcnt lgkmcnt(0)
	s_barrier
	ds_read_b64 v[4:5], v2
	v_accvgpr_read_b32 v6, a130
	v_accvgpr_read_b32 v7, a131
	v_cvt_f16_f32_e32 v6, v6
	v_cvt_f16_f32_e32 v7, v7
	s_waitcnt lgkmcnt(0)
	buffer_store_dwordx2 v[4:5], v3, s[0:3], 0 offen offset:128
	v_accvgpr_read_b32 v4, a128
	v_accvgpr_read_b32 v5, a129
	v_cvt_f16_f32_e32 v4, v4
	v_cvt_f16_f32_e32 v5, v5
	;; [unrolled: 19-line block ×5, first 2 shown]
	s_waitcnt lgkmcnt(0)
	s_barrier
	ds_write_b16 v1, v4
	ds_write_b16 v1, v5 offset:64
	ds_write_b16 v1, v6 offset:128
	;; [unrolled: 1-line block ×3, first 2 shown]
	s_waitcnt lgkmcnt(0)
	s_barrier
	ds_read_b64 v[4:5], v2
	v_accvgpr_read_b32 v6, a111
	v_cvt_f16_f32_e32 v6, v6
	v_accvgpr_read_b32 v7, a99
	v_cvt_f16_f32_e32 v7, v7
	s_waitcnt lgkmcnt(0)
	buffer_store_dwordx2 v[4:5], v3, s[0:3], 0 offen offset:384
	v_accvgpr_read_b32 v3, a108
	v_accvgpr_read_b32 v4, a109
	;; [unrolled: 1-line block ×3, first 2 shown]
	v_cvt_f16_f32_e32 v3, v3
	v_cvt_f16_f32_e32 v4, v4
	;; [unrolled: 1-line block ×3, first 2 shown]
	s_waitcnt lgkmcnt(0)
	s_barrier
	ds_write_b16 v1, v3
	ds_write_b16 v1, v4 offset:64
	ds_write_b16 v1, v5 offset:128
	;; [unrolled: 1-line block ×3, first 2 shown]
	s_waitcnt lgkmcnt(0)
	s_barrier
	ds_read_b64 v[4:5], v2
	v_add_u32_e32 v3, 0xe0, v0
	v_lshlrev_b32_e32 v6, 1, v3
	v_add_lshl_u32 v3, v3, s4, 1
	v_add_u32_e32 v0, s4, v0
	s_waitcnt lgkmcnt(0)
	buffer_store_dwordx2 v[4:5], v6, s[0:3], 0 offen
	v_accvgpr_read_b32 v4, a96
	v_accvgpr_read_b32 v5, a97
	v_accvgpr_read_b32 v6, a98
	v_cvt_f16_f32_e32 v4, v4
	v_cvt_f16_f32_e32 v5, v5
	;; [unrolled: 1-line block ×3, first 2 shown]
	s_waitcnt lgkmcnt(0)
	s_barrier
	ds_write_b16 v1, v4
	ds_write_b16 v1, v5 offset:64
	ds_write_b16 v1, v6 offset:128
	;; [unrolled: 1-line block ×3, first 2 shown]
	s_waitcnt lgkmcnt(0)
	s_barrier
	ds_read_b64 v[4:5], v2
	v_accvgpr_read_b32 v6, a90
	v_accvgpr_read_b32 v7, a91
	v_cvt_f16_f32_e32 v6, v6
	v_cvt_f16_f32_e32 v7, v7
	s_waitcnt lgkmcnt(0)
	buffer_store_dwordx2 v[4:5], v3, s[0:3], 0 offen
	v_accvgpr_read_b32 v4, a88
	v_accvgpr_read_b32 v5, a89
	v_cvt_f16_f32_e32 v4, v4
	v_cvt_f16_f32_e32 v5, v5
	s_waitcnt lgkmcnt(0)
	s_barrier
	ds_write_b16 v1, v4
	ds_write_b16 v1, v5 offset:64
	ds_write_b16 v1, v6 offset:128
	ds_write_b16 v1, v7 offset:192
	s_waitcnt lgkmcnt(0)
	s_barrier
	ds_read_b64 v[4:5], v2
	v_subrev_u32_e32 v6, 64, v3
	v_accvgpr_read_b32 v7, a147
	v_cvt_f16_f32_e32 v7, v7
	s_waitcnt lgkmcnt(0)
	buffer_store_dwordx2 v[4:5], v6, s[0:3], 0 offen
	v_accvgpr_read_b32 v4, a144
	v_accvgpr_read_b32 v5, a145
	v_accvgpr_read_b32 v6, a146
	v_cvt_f16_f32_e32 v4, v4
	v_cvt_f16_f32_e32 v5, v5
	v_cvt_f16_f32_e32 v6, v6
	s_waitcnt lgkmcnt(0)
	s_barrier
	ds_write_b16 v1, v4
	ds_write_b16 v1, v5 offset:64
	ds_write_b16 v1, v6 offset:128
	ds_write_b16 v1, v7 offset:192
	s_waitcnt lgkmcnt(0)
	s_barrier
	ds_read_b64 v[4:5], v2
	v_add_u32_e32 v6, 0xffffff80, v3
	v_accvgpr_read_b32 v7, a95
	v_cvt_f16_f32_e32 v7, v7
	s_waitcnt lgkmcnt(0)
	buffer_store_dwordx2 v[4:5], v6, s[0:3], 0 offen
	v_accvgpr_read_b32 v4, a92
	v_accvgpr_read_b32 v5, a93
	v_accvgpr_read_b32 v6, a94
	v_cvt_f16_f32_e32 v4, v4
	v_cvt_f16_f32_e32 v5, v5
	v_cvt_f16_f32_e32 v6, v6
	s_waitcnt lgkmcnt(0)
	s_barrier
	ds_write_b16 v1, v4
	ds_write_b16 v1, v5 offset:64
	ds_write_b16 v1, v6 offset:128
	ds_write_b16 v1, v7 offset:192
	s_waitcnt lgkmcnt(0)
	s_barrier
	ds_read_b64 v[4:5], v2
	v_add_u32_e32 v6, 0xffffff40, v3
	;; [unrolled: 20-line block ×4, first 2 shown]
	v_accvgpr_read_b32 v7, a107
	v_cvt_f16_f32_e32 v7, v7
	v_add_u32_e32 v3, 0xfffffe80, v3
	s_waitcnt lgkmcnt(0)
	buffer_store_dwordx2 v[4:5], v6, s[0:3], 0 offen
	v_accvgpr_read_b32 v4, a104
	v_accvgpr_read_b32 v5, a105
	;; [unrolled: 1-line block ×3, first 2 shown]
	v_cvt_f16_f32_e32 v4, v4
	v_cvt_f16_f32_e32 v5, v5
	;; [unrolled: 1-line block ×3, first 2 shown]
	s_waitcnt lgkmcnt(0)
	s_barrier
	ds_write_b16 v1, v4
	ds_write_b16 v1, v5 offset:64
	ds_write_b16 v1, v6 offset:128
	;; [unrolled: 1-line block ×3, first 2 shown]
	s_waitcnt lgkmcnt(0)
	s_barrier
	ds_read_b64 v[4:5], v2
	s_waitcnt lgkmcnt(0)
	buffer_store_dwordx2 v[4:5], v3, s[0:3], 0 offen
	v_pk_mov_b32 v[4:5], v[10:11], v[10:11] op_sel:[0,1]
	v_pk_mov_b32 v[6:7], v[12:13], v[12:13] op_sel:[0,1]
	v_mov_b32_e32 v3, v4
	v_mov_b32_e32 v4, v5
	;; [unrolled: 1-line block ×4, first 2 shown]
	v_cvt_f16_f32_e32 v3, v3
	v_cvt_f16_f32_e32 v4, v4
	;; [unrolled: 1-line block ×4, first 2 shown]
	s_waitcnt lgkmcnt(0)
	s_barrier
	ds_write_b16 v1, v3
	ds_write_b16 v1, v4 offset:64
	ds_write_b16 v1, v5 offset:128
	;; [unrolled: 1-line block ×3, first 2 shown]
	s_waitcnt lgkmcnt(0)
	s_barrier
	ds_read_b64 v[4:5], v2
	v_lshlrev_b32_e32 v3, 1, v0
	v_accvgpr_read_b32 v6, a79
	v_cvt_f16_f32_e32 v6, v6
	v_accvgpr_read_b32 v7, a63
	s_waitcnt lgkmcnt(0)
	buffer_store_dwordx2 v[4:5], v3, s[0:3], 0 offen
	v_accvgpr_read_b32 v3, a76
	v_accvgpr_read_b32 v4, a77
	;; [unrolled: 1-line block ×3, first 2 shown]
	v_cvt_f16_f32_e32 v3, v3
	v_cvt_f16_f32_e32 v4, v4
	;; [unrolled: 1-line block ×3, first 2 shown]
	s_waitcnt lgkmcnt(0)
	s_barrier
	ds_write_b16 v1, v3
	ds_write_b16 v1, v4 offset:64
	ds_write_b16 v1, v5 offset:128
	;; [unrolled: 1-line block ×3, first 2 shown]
	s_waitcnt lgkmcnt(0)
	s_barrier
	ds_read_b64 v[4:5], v2
	v_add_u32_e32 v3, s4, v0
	v_lshlrev_b32_e32 v0, 1, v3
	v_accvgpr_read_b32 v6, a62
	v_cvt_f16_f32_e32 v6, v6
	s_waitcnt lgkmcnt(0)
	buffer_store_dwordx2 v[4:5], v0, s[0:3], 0 offen
	v_accvgpr_read_b32 v4, a60
	v_accvgpr_read_b32 v5, a61
	v_cvt_f16_f32_e32 v4, v4
	v_cvt_f16_f32_e32 v5, v5
	;; [unrolled: 1-line block ×3, first 2 shown]
	s_waitcnt lgkmcnt(0)
	s_barrier
	ds_write_b16 v1, v4
	ds_write_b16 v1, v5 offset:64
	ds_write_b16 v1, v6 offset:128
	ds_write_b16 v1, v7 offset:192
	s_waitcnt lgkmcnt(0)
	s_barrier
	ds_read_b64 v[4:5], v2
	v_accvgpr_read_b32 v6, a74
	v_accvgpr_read_b32 v7, a75
	v_cvt_f16_f32_e32 v6, v6
	v_cvt_f16_f32_e32 v7, v7
	s_waitcnt lgkmcnt(0)
	buffer_store_dwordx2 v[4:5], v0, s[0:3], 0 offen offset:64
	v_accvgpr_read_b32 v4, a72
	v_accvgpr_read_b32 v5, a73
	v_cvt_f16_f32_e32 v4, v4
	v_cvt_f16_f32_e32 v5, v5
	s_waitcnt lgkmcnt(0)
	s_barrier
	ds_write_b16 v1, v4
	ds_write_b16 v1, v5 offset:64
	ds_write_b16 v1, v6 offset:128
	ds_write_b16 v1, v7 offset:192
	s_waitcnt lgkmcnt(0)
	s_barrier
	ds_read_b64 v[4:5], v2
	v_accvgpr_read_b32 v6, a86
	v_accvgpr_read_b32 v7, a87
	v_cvt_f16_f32_e32 v6, v6
	v_cvt_f16_f32_e32 v7, v7
	s_waitcnt lgkmcnt(0)
	buffer_store_dwordx2 v[4:5], v0, s[0:3], 0 offen offset:128
	v_accvgpr_read_b32 v4, a84
	v_accvgpr_read_b32 v5, a85
	v_cvt_f16_f32_e32 v4, v4
	v_cvt_f16_f32_e32 v5, v5
	;; [unrolled: 19-line block ×5, first 2 shown]
	s_waitcnt lgkmcnt(0)
	s_barrier
	ds_write_b16 v1, v4
	ds_write_b16 v1, v5 offset:64
	ds_write_b16 v1, v6 offset:128
	;; [unrolled: 1-line block ×3, first 2 shown]
	s_waitcnt lgkmcnt(0)
	s_barrier
	ds_read_b64 v[4:5], v2
	v_accvgpr_read_b32 v6, a67
	v_cvt_f16_f32_e32 v6, v6
	v_accvgpr_read_b32 v7, a35
	v_cvt_f16_f32_e32 v7, v7
	s_waitcnt lgkmcnt(0)
	buffer_store_dwordx2 v[4:5], v0, s[0:3], 0 offen offset:384
	v_accvgpr_read_b32 v0, a64
	v_accvgpr_read_b32 v4, a65
	v_accvgpr_read_b32 v5, a66
	v_cvt_f16_f32_e32 v0, v0
	v_cvt_f16_f32_e32 v4, v4
	;; [unrolled: 1-line block ×3, first 2 shown]
	s_waitcnt lgkmcnt(0)
	s_barrier
	ds_write_b16 v1, v0
	ds_write_b16 v1, v4 offset:64
	ds_write_b16 v1, v5 offset:128
	;; [unrolled: 1-line block ×3, first 2 shown]
	s_waitcnt lgkmcnt(0)
	s_barrier
	ds_read_b64 v[4:5], v2
	v_add_u32_e32 v0, 0xe0, v3
	v_lshlrev_b32_e32 v6, 1, v0
	v_add_lshl_u32 v0, v0, s4, 1
	s_waitcnt lgkmcnt(0)
	buffer_store_dwordx2 v[4:5], v6, s[0:3], 0 offen
	v_accvgpr_read_b32 v4, a32
	v_accvgpr_read_b32 v5, a33
	;; [unrolled: 1-line block ×3, first 2 shown]
	v_cvt_f16_f32_e32 v4, v4
	v_cvt_f16_f32_e32 v5, v5
	;; [unrolled: 1-line block ×3, first 2 shown]
	s_waitcnt lgkmcnt(0)
	s_barrier
	ds_write_b16 v1, v4
	ds_write_b16 v1, v5 offset:64
	ds_write_b16 v1, v6 offset:128
	;; [unrolled: 1-line block ×3, first 2 shown]
	s_waitcnt lgkmcnt(0)
	s_barrier
	ds_read_b64 v[4:5], v2
	v_accvgpr_read_b32 v6, a26
	v_accvgpr_read_b32 v7, a27
	v_cvt_f16_f32_e32 v6, v6
	v_cvt_f16_f32_e32 v7, v7
	s_waitcnt lgkmcnt(0)
	buffer_store_dwordx2 v[4:5], v0, s[0:3], 0 offen
	v_accvgpr_read_b32 v4, a24
	v_accvgpr_read_b32 v5, a25
	v_cvt_f16_f32_e32 v4, v4
	v_cvt_f16_f32_e32 v5, v5
	s_waitcnt lgkmcnt(0)
	s_barrier
	ds_write_b16 v1, v4
	ds_write_b16 v1, v5 offset:64
	ds_write_b16 v1, v6 offset:128
	;; [unrolled: 1-line block ×3, first 2 shown]
	s_waitcnt lgkmcnt(0)
	s_barrier
	ds_read_b64 v[4:5], v2
	v_subrev_u32_e32 v6, 64, v0
	v_accvgpr_read_b32 v7, a23
	v_cvt_f16_f32_e32 v7, v7
	s_waitcnt lgkmcnt(0)
	buffer_store_dwordx2 v[4:5], v6, s[0:3], 0 offen
	v_accvgpr_read_b32 v4, a20
	v_accvgpr_read_b32 v5, a21
	v_accvgpr_read_b32 v6, a22
	v_cvt_f16_f32_e32 v4, v4
	v_cvt_f16_f32_e32 v5, v5
	v_cvt_f16_f32_e32 v6, v6
	s_waitcnt lgkmcnt(0)
	s_barrier
	ds_write_b16 v1, v4
	ds_write_b16 v1, v5 offset:64
	ds_write_b16 v1, v6 offset:128
	ds_write_b16 v1, v7 offset:192
	s_waitcnt lgkmcnt(0)
	s_barrier
	ds_read_b64 v[4:5], v2
	v_add_u32_e32 v6, 0xffffff80, v0
	v_accvgpr_read_b32 v7, a39
	v_cvt_f16_f32_e32 v7, v7
	s_waitcnt lgkmcnt(0)
	buffer_store_dwordx2 v[4:5], v6, s[0:3], 0 offen
	v_accvgpr_read_b32 v4, a36
	v_accvgpr_read_b32 v5, a37
	v_accvgpr_read_b32 v6, a38
	v_cvt_f16_f32_e32 v4, v4
	v_cvt_f16_f32_e32 v5, v5
	v_cvt_f16_f32_e32 v6, v6
	s_waitcnt lgkmcnt(0)
	s_barrier
	ds_write_b16 v1, v4
	ds_write_b16 v1, v5 offset:64
	ds_write_b16 v1, v6 offset:128
	ds_write_b16 v1, v7 offset:192
	s_waitcnt lgkmcnt(0)
	s_barrier
	ds_read_b64 v[4:5], v2
	v_add_u32_e32 v6, 0xffffff40, v0
	;; [unrolled: 20-line block ×4, first 2 shown]
	v_accvgpr_read_b32 v7, a43
	v_cvt_f16_f32_e32 v7, v7
	v_add_u32_e32 v0, 0xfffffe80, v0
	s_waitcnt lgkmcnt(0)
	buffer_store_dwordx2 v[4:5], v6, s[0:3], 0 offen
	v_accvgpr_read_b32 v4, a40
	v_accvgpr_read_b32 v5, a41
	;; [unrolled: 1-line block ×3, first 2 shown]
	v_cvt_f16_f32_e32 v4, v4
	v_cvt_f16_f32_e32 v5, v5
	;; [unrolled: 1-line block ×3, first 2 shown]
	s_waitcnt lgkmcnt(0)
	s_barrier
	ds_write_b16 v1, v4
	ds_write_b16 v1, v5 offset:64
	ds_write_b16 v1, v6 offset:128
	;; [unrolled: 1-line block ×3, first 2 shown]
	s_waitcnt lgkmcnt(0)
	s_barrier
	ds_read_b64 v[4:5], v2
	v_accvgpr_read_b32 v6, a59
	v_cvt_f16_f32_e32 v6, v6
	s_waitcnt lgkmcnt(0)
	buffer_store_dwordx2 v[4:5], v0, s[0:3], 0 offen
	v_accvgpr_read_b32 v0, a56
	v_accvgpr_read_b32 v4, a57
	;; [unrolled: 1-line block ×3, first 2 shown]
	v_cvt_f16_f32_e32 v0, v0
	v_cvt_f16_f32_e32 v4, v4
	;; [unrolled: 1-line block ×3, first 2 shown]
	s_waitcnt lgkmcnt(0)
	s_barrier
	ds_write_b16 v1, v0
	ds_write_b16 v1, v4 offset:64
	ds_write_b16 v1, v5 offset:128
	;; [unrolled: 1-line block ×3, first 2 shown]
	s_waitcnt lgkmcnt(0)
	s_barrier
	ds_read_b64 v[0:1], v2
	v_add_lshl_u32 v2, v3, s4, 1
	s_waitcnt lgkmcnt(0)
	buffer_store_dwordx2 v[0:1], v2, s[0:3], 0 offen
	s_endpgm
	.section	.rodata,"a",@progbits
	.p2align	6, 0x0
	.amdhsa_kernel _ZN2ck27kernel_gemm_xdl_cshuffle_v2INS_28GridwiseGemm_xdl_cshuffle_v2INS_13tensor_layout4gemm8RowMajorES4_S4_DF16_DF16_fDF16_DF16_NS_16tensor_operation12element_wise11PassThroughES7_S7_LNS5_6device18GemmSpecializationE0ELNS_25InMemoryDataOperationEnumE0ELi2ELi256ELi256ELi256ELi32ELi8ELi4ELi16ELi16ELi8ELi8ENS_8SequenceIJLi4ELi64ELi1EEEENSB_IJLi1ELi0ELi2EEEESD_Li2ELi8ELi8ELb0ELi0ENSB_IJLi8ELi32ELi1EEEENSB_IJLi0ELi2ELi1EEEESF_Li1ELi8ELi4ELb0ELi0ELi1ELi1ENSB_IJLi1ELi32ELi1ELi8EEEELi4ELNS_13LoopSchedulerE0ELNS_15PipelineVersionE0EDF16_DF16_EELb1ELi2EEEvNT_8ArgumentE
		.amdhsa_group_segment_fixed_size 65536
		.amdhsa_private_segment_fixed_size 0
		.amdhsa_kernarg_size 96
		.amdhsa_user_sgpr_count 6
		.amdhsa_user_sgpr_private_segment_buffer 1
		.amdhsa_user_sgpr_dispatch_ptr 0
		.amdhsa_user_sgpr_queue_ptr 0
		.amdhsa_user_sgpr_kernarg_segment_ptr 1
		.amdhsa_user_sgpr_dispatch_id 0
		.amdhsa_user_sgpr_flat_scratch_init 0
		.amdhsa_user_sgpr_kernarg_preload_length 0
		.amdhsa_user_sgpr_kernarg_preload_offset 0
		.amdhsa_user_sgpr_private_segment_size 0
		.amdhsa_uses_dynamic_stack 0
		.amdhsa_system_sgpr_private_segment_wavefront_offset 0
		.amdhsa_system_sgpr_workgroup_id_x 1
		.amdhsa_system_sgpr_workgroup_id_y 0
		.amdhsa_system_sgpr_workgroup_id_z 0
		.amdhsa_system_sgpr_workgroup_info 0
		.amdhsa_system_vgpr_workitem_id 0
		.amdhsa_next_free_vgpr 428
		.amdhsa_next_free_sgpr 27
		.amdhsa_accum_offset 172
		.amdhsa_reserve_vcc 0
		.amdhsa_reserve_flat_scratch 0
		.amdhsa_float_round_mode_32 0
		.amdhsa_float_round_mode_16_64 0
		.amdhsa_float_denorm_mode_32 3
		.amdhsa_float_denorm_mode_16_64 3
		.amdhsa_dx10_clamp 1
		.amdhsa_ieee_mode 1
		.amdhsa_fp16_overflow 0
		.amdhsa_tg_split 0
		.amdhsa_exception_fp_ieee_invalid_op 0
		.amdhsa_exception_fp_denorm_src 0
		.amdhsa_exception_fp_ieee_div_zero 0
		.amdhsa_exception_fp_ieee_overflow 0
		.amdhsa_exception_fp_ieee_underflow 0
		.amdhsa_exception_fp_ieee_inexact 0
		.amdhsa_exception_int_div_zero 0
	.end_amdhsa_kernel
	.section	.text._ZN2ck27kernel_gemm_xdl_cshuffle_v2INS_28GridwiseGemm_xdl_cshuffle_v2INS_13tensor_layout4gemm8RowMajorES4_S4_DF16_DF16_fDF16_DF16_NS_16tensor_operation12element_wise11PassThroughES7_S7_LNS5_6device18GemmSpecializationE0ELNS_25InMemoryDataOperationEnumE0ELi2ELi256ELi256ELi256ELi32ELi8ELi4ELi16ELi16ELi8ELi8ENS_8SequenceIJLi4ELi64ELi1EEEENSB_IJLi1ELi0ELi2EEEESD_Li2ELi8ELi8ELb0ELi0ENSB_IJLi8ELi32ELi1EEEENSB_IJLi0ELi2ELi1EEEESF_Li1ELi8ELi4ELb0ELi0ELi1ELi1ENSB_IJLi1ELi32ELi1ELi8EEEELi4ELNS_13LoopSchedulerE0ELNS_15PipelineVersionE0EDF16_DF16_EELb1ELi2EEEvNT_8ArgumentE,"axG",@progbits,_ZN2ck27kernel_gemm_xdl_cshuffle_v2INS_28GridwiseGemm_xdl_cshuffle_v2INS_13tensor_layout4gemm8RowMajorES4_S4_DF16_DF16_fDF16_DF16_NS_16tensor_operation12element_wise11PassThroughES7_S7_LNS5_6device18GemmSpecializationE0ELNS_25InMemoryDataOperationEnumE0ELi2ELi256ELi256ELi256ELi32ELi8ELi4ELi16ELi16ELi8ELi8ENS_8SequenceIJLi4ELi64ELi1EEEENSB_IJLi1ELi0ELi2EEEESD_Li2ELi8ELi8ELb0ELi0ENSB_IJLi8ELi32ELi1EEEENSB_IJLi0ELi2ELi1EEEESF_Li1ELi8ELi4ELb0ELi0ELi1ELi1ENSB_IJLi1ELi32ELi1ELi8EEEELi4ELNS_13LoopSchedulerE0ELNS_15PipelineVersionE0EDF16_DF16_EELb1ELi2EEEvNT_8ArgumentE,comdat
.Lfunc_end2:
	.size	_ZN2ck27kernel_gemm_xdl_cshuffle_v2INS_28GridwiseGemm_xdl_cshuffle_v2INS_13tensor_layout4gemm8RowMajorES4_S4_DF16_DF16_fDF16_DF16_NS_16tensor_operation12element_wise11PassThroughES7_S7_LNS5_6device18GemmSpecializationE0ELNS_25InMemoryDataOperationEnumE0ELi2ELi256ELi256ELi256ELi32ELi8ELi4ELi16ELi16ELi8ELi8ENS_8SequenceIJLi4ELi64ELi1EEEENSB_IJLi1ELi0ELi2EEEESD_Li2ELi8ELi8ELb0ELi0ENSB_IJLi8ELi32ELi1EEEENSB_IJLi0ELi2ELi1EEEESF_Li1ELi8ELi4ELb0ELi0ELi1ELi1ENSB_IJLi1ELi32ELi1ELi8EEEELi4ELNS_13LoopSchedulerE0ELNS_15PipelineVersionE0EDF16_DF16_EELb1ELi2EEEvNT_8ArgumentE, .Lfunc_end2-_ZN2ck27kernel_gemm_xdl_cshuffle_v2INS_28GridwiseGemm_xdl_cshuffle_v2INS_13tensor_layout4gemm8RowMajorES4_S4_DF16_DF16_fDF16_DF16_NS_16tensor_operation12element_wise11PassThroughES7_S7_LNS5_6device18GemmSpecializationE0ELNS_25InMemoryDataOperationEnumE0ELi2ELi256ELi256ELi256ELi32ELi8ELi4ELi16ELi16ELi8ELi8ENS_8SequenceIJLi4ELi64ELi1EEEENSB_IJLi1ELi0ELi2EEEESD_Li2ELi8ELi8ELb0ELi0ENSB_IJLi8ELi32ELi1EEEENSB_IJLi0ELi2ELi1EEEESF_Li1ELi8ELi4ELb0ELi0ELi1ELi1ENSB_IJLi1ELi32ELi1ELi8EEEELi4ELNS_13LoopSchedulerE0ELNS_15PipelineVersionE0EDF16_DF16_EELb1ELi2EEEvNT_8ArgumentE
                                        ; -- End function
	.section	.AMDGPU.csdata,"",@progbits
; Kernel info:
; codeLenInByte = 17868
; NumSgprs: 31
; NumVgprs: 170
; NumAgprs: 256
; TotalNumVgprs: 428
; ScratchSize: 0
; MemoryBound: 0
; FloatMode: 240
; IeeeMode: 1
; LDSByteSize: 65536 bytes/workgroup (compile time only)
; SGPRBlocks: 3
; VGPRBlocks: 53
; NumSGPRsForWavesPerEU: 31
; NumVGPRsForWavesPerEU: 428
; AccumOffset: 172
; Occupancy: 1
; WaveLimiterHint : 0
; COMPUTE_PGM_RSRC2:SCRATCH_EN: 0
; COMPUTE_PGM_RSRC2:USER_SGPR: 6
; COMPUTE_PGM_RSRC2:TRAP_HANDLER: 0
; COMPUTE_PGM_RSRC2:TGID_X_EN: 1
; COMPUTE_PGM_RSRC2:TGID_Y_EN: 0
; COMPUTE_PGM_RSRC2:TGID_Z_EN: 0
; COMPUTE_PGM_RSRC2:TIDIG_COMP_CNT: 0
; COMPUTE_PGM_RSRC3_GFX90A:ACCUM_OFFSET: 42
; COMPUTE_PGM_RSRC3_GFX90A:TG_SPLIT: 0
	.section	.text._ZN2ck27kernel_gemm_xdl_cshuffle_v2INS_28GridwiseGemm_xdl_cshuffle_v2INS_13tensor_layout4gemm8RowMajorES4_S4_DF16_DF16_fDF16_DF16_NS_16tensor_operation12element_wise11PassThroughES7_S7_LNS5_6device18GemmSpecializationE0ELNS_25InMemoryDataOperationEnumE0ELi2ELi256ELi256ELi256ELi32ELi8ELi4ELi16ELi16ELi8ELi4ENS_8SequenceIJLi4ELi64ELi1EEEENSB_IJLi1ELi0ELi2EEEESD_Li2ELi8ELi8ELb0ELi0ENSB_IJLi8ELi32ELi1EEEENSB_IJLi0ELi2ELi1EEEESF_Li1ELi8ELi4ELb0ELi0ELi1ELi1ENSB_IJLi1ELi32ELi1ELi8EEEELi4ELNS_13LoopSchedulerE0ELNS_15PipelineVersionE0EDF16_DF16_EELb1ELi3EEEvNT_8ArgumentE,"axG",@progbits,_ZN2ck27kernel_gemm_xdl_cshuffle_v2INS_28GridwiseGemm_xdl_cshuffle_v2INS_13tensor_layout4gemm8RowMajorES4_S4_DF16_DF16_fDF16_DF16_NS_16tensor_operation12element_wise11PassThroughES7_S7_LNS5_6device18GemmSpecializationE0ELNS_25InMemoryDataOperationEnumE0ELi2ELi256ELi256ELi256ELi32ELi8ELi4ELi16ELi16ELi8ELi4ENS_8SequenceIJLi4ELi64ELi1EEEENSB_IJLi1ELi0ELi2EEEESD_Li2ELi8ELi8ELb0ELi0ENSB_IJLi8ELi32ELi1EEEENSB_IJLi0ELi2ELi1EEEESF_Li1ELi8ELi4ELb0ELi0ELi1ELi1ENSB_IJLi1ELi32ELi1ELi8EEEELi4ELNS_13LoopSchedulerE0ELNS_15PipelineVersionE0EDF16_DF16_EELb1ELi3EEEvNT_8ArgumentE,comdat
	.protected	_ZN2ck27kernel_gemm_xdl_cshuffle_v2INS_28GridwiseGemm_xdl_cshuffle_v2INS_13tensor_layout4gemm8RowMajorES4_S4_DF16_DF16_fDF16_DF16_NS_16tensor_operation12element_wise11PassThroughES7_S7_LNS5_6device18GemmSpecializationE0ELNS_25InMemoryDataOperationEnumE0ELi2ELi256ELi256ELi256ELi32ELi8ELi4ELi16ELi16ELi8ELi4ENS_8SequenceIJLi4ELi64ELi1EEEENSB_IJLi1ELi0ELi2EEEESD_Li2ELi8ELi8ELb0ELi0ENSB_IJLi8ELi32ELi1EEEENSB_IJLi0ELi2ELi1EEEESF_Li1ELi8ELi4ELb0ELi0ELi1ELi1ENSB_IJLi1ELi32ELi1ELi8EEEELi4ELNS_13LoopSchedulerE0ELNS_15PipelineVersionE0EDF16_DF16_EELb1ELi3EEEvNT_8ArgumentE ; -- Begin function _ZN2ck27kernel_gemm_xdl_cshuffle_v2INS_28GridwiseGemm_xdl_cshuffle_v2INS_13tensor_layout4gemm8RowMajorES4_S4_DF16_DF16_fDF16_DF16_NS_16tensor_operation12element_wise11PassThroughES7_S7_LNS5_6device18GemmSpecializationE0ELNS_25InMemoryDataOperationEnumE0ELi2ELi256ELi256ELi256ELi32ELi8ELi4ELi16ELi16ELi8ELi4ENS_8SequenceIJLi4ELi64ELi1EEEENSB_IJLi1ELi0ELi2EEEESD_Li2ELi8ELi8ELb0ELi0ENSB_IJLi8ELi32ELi1EEEENSB_IJLi0ELi2ELi1EEEESF_Li1ELi8ELi4ELb0ELi0ELi1ELi1ENSB_IJLi1ELi32ELi1ELi8EEEELi4ELNS_13LoopSchedulerE0ELNS_15PipelineVersionE0EDF16_DF16_EELb1ELi3EEEvNT_8ArgumentE
	.globl	_ZN2ck27kernel_gemm_xdl_cshuffle_v2INS_28GridwiseGemm_xdl_cshuffle_v2INS_13tensor_layout4gemm8RowMajorES4_S4_DF16_DF16_fDF16_DF16_NS_16tensor_operation12element_wise11PassThroughES7_S7_LNS5_6device18GemmSpecializationE0ELNS_25InMemoryDataOperationEnumE0ELi2ELi256ELi256ELi256ELi32ELi8ELi4ELi16ELi16ELi8ELi4ENS_8SequenceIJLi4ELi64ELi1EEEENSB_IJLi1ELi0ELi2EEEESD_Li2ELi8ELi8ELb0ELi0ENSB_IJLi8ELi32ELi1EEEENSB_IJLi0ELi2ELi1EEEESF_Li1ELi8ELi4ELb0ELi0ELi1ELi1ENSB_IJLi1ELi32ELi1ELi8EEEELi4ELNS_13LoopSchedulerE0ELNS_15PipelineVersionE0EDF16_DF16_EELb1ELi3EEEvNT_8ArgumentE
	.p2align	8
	.type	_ZN2ck27kernel_gemm_xdl_cshuffle_v2INS_28GridwiseGemm_xdl_cshuffle_v2INS_13tensor_layout4gemm8RowMajorES4_S4_DF16_DF16_fDF16_DF16_NS_16tensor_operation12element_wise11PassThroughES7_S7_LNS5_6device18GemmSpecializationE0ELNS_25InMemoryDataOperationEnumE0ELi2ELi256ELi256ELi256ELi32ELi8ELi4ELi16ELi16ELi8ELi4ENS_8SequenceIJLi4ELi64ELi1EEEENSB_IJLi1ELi0ELi2EEEESD_Li2ELi8ELi8ELb0ELi0ENSB_IJLi8ELi32ELi1EEEENSB_IJLi0ELi2ELi1EEEESF_Li1ELi8ELi4ELb0ELi0ELi1ELi1ENSB_IJLi1ELi32ELi1ELi8EEEELi4ELNS_13LoopSchedulerE0ELNS_15PipelineVersionE0EDF16_DF16_EELb1ELi3EEEvNT_8ArgumentE,@function
_ZN2ck27kernel_gemm_xdl_cshuffle_v2INS_28GridwiseGemm_xdl_cshuffle_v2INS_13tensor_layout4gemm8RowMajorES4_S4_DF16_DF16_fDF16_DF16_NS_16tensor_operation12element_wise11PassThroughES7_S7_LNS5_6device18GemmSpecializationE0ELNS_25InMemoryDataOperationEnumE0ELi2ELi256ELi256ELi256ELi32ELi8ELi4ELi16ELi16ELi8ELi4ENS_8SequenceIJLi4ELi64ELi1EEEENSB_IJLi1ELi0ELi2EEEESD_Li2ELi8ELi8ELb0ELi0ENSB_IJLi8ELi32ELi1EEEENSB_IJLi0ELi2ELi1EEEESF_Li1ELi8ELi4ELb0ELi0ELi1ELi1ENSB_IJLi1ELi32ELi1ELi8EEEELi4ELNS_13LoopSchedulerE0ELNS_15PipelineVersionE0EDF16_DF16_EELb1ELi3EEEvNT_8ArgumentE: ; @_ZN2ck27kernel_gemm_xdl_cshuffle_v2INS_28GridwiseGemm_xdl_cshuffle_v2INS_13tensor_layout4gemm8RowMajorES4_S4_DF16_DF16_fDF16_DF16_NS_16tensor_operation12element_wise11PassThroughES7_S7_LNS5_6device18GemmSpecializationE0ELNS_25InMemoryDataOperationEnumE0ELi2ELi256ELi256ELi256ELi32ELi8ELi4ELi16ELi16ELi8ELi4ENS_8SequenceIJLi4ELi64ELi1EEEENSB_IJLi1ELi0ELi2EEEESD_Li2ELi8ELi8ELb0ELi0ENSB_IJLi8ELi32ELi1EEEENSB_IJLi0ELi2ELi1EEEESF_Li1ELi8ELi4ELb0ELi0ELi1ELi1ENSB_IJLi1ELi32ELi1ELi8EEEELi4ELNS_13LoopSchedulerE0ELNS_15PipelineVersionE0EDF16_DF16_EELb1ELi3EEEvNT_8ArgumentE
; %bb.0:
	s_endpgm
	.section	.rodata,"a",@progbits
	.p2align	6, 0x0
	.amdhsa_kernel _ZN2ck27kernel_gemm_xdl_cshuffle_v2INS_28GridwiseGemm_xdl_cshuffle_v2INS_13tensor_layout4gemm8RowMajorES4_S4_DF16_DF16_fDF16_DF16_NS_16tensor_operation12element_wise11PassThroughES7_S7_LNS5_6device18GemmSpecializationE0ELNS_25InMemoryDataOperationEnumE0ELi2ELi256ELi256ELi256ELi32ELi8ELi4ELi16ELi16ELi8ELi4ENS_8SequenceIJLi4ELi64ELi1EEEENSB_IJLi1ELi0ELi2EEEESD_Li2ELi8ELi8ELb0ELi0ENSB_IJLi8ELi32ELi1EEEENSB_IJLi0ELi2ELi1EEEESF_Li1ELi8ELi4ELb0ELi0ELi1ELi1ENSB_IJLi1ELi32ELi1ELi8EEEELi4ELNS_13LoopSchedulerE0ELNS_15PipelineVersionE0EDF16_DF16_EELb1ELi3EEEvNT_8ArgumentE
		.amdhsa_group_segment_fixed_size 0
		.amdhsa_private_segment_fixed_size 0
		.amdhsa_kernarg_size 96
		.amdhsa_user_sgpr_count 6
		.amdhsa_user_sgpr_private_segment_buffer 1
		.amdhsa_user_sgpr_dispatch_ptr 0
		.amdhsa_user_sgpr_queue_ptr 0
		.amdhsa_user_sgpr_kernarg_segment_ptr 1
		.amdhsa_user_sgpr_dispatch_id 0
		.amdhsa_user_sgpr_flat_scratch_init 0
		.amdhsa_user_sgpr_kernarg_preload_length 0
		.amdhsa_user_sgpr_kernarg_preload_offset 0
		.amdhsa_user_sgpr_private_segment_size 0
		.amdhsa_uses_dynamic_stack 0
		.amdhsa_system_sgpr_private_segment_wavefront_offset 0
		.amdhsa_system_sgpr_workgroup_id_x 1
		.amdhsa_system_sgpr_workgroup_id_y 0
		.amdhsa_system_sgpr_workgroup_id_z 0
		.amdhsa_system_sgpr_workgroup_info 0
		.amdhsa_system_vgpr_workitem_id 0
		.amdhsa_next_free_vgpr 1
		.amdhsa_next_free_sgpr 0
		.amdhsa_accum_offset 4
		.amdhsa_reserve_vcc 0
		.amdhsa_reserve_flat_scratch 0
		.amdhsa_float_round_mode_32 0
		.amdhsa_float_round_mode_16_64 0
		.amdhsa_float_denorm_mode_32 3
		.amdhsa_float_denorm_mode_16_64 3
		.amdhsa_dx10_clamp 1
		.amdhsa_ieee_mode 1
		.amdhsa_fp16_overflow 0
		.amdhsa_tg_split 0
		.amdhsa_exception_fp_ieee_invalid_op 0
		.amdhsa_exception_fp_denorm_src 0
		.amdhsa_exception_fp_ieee_div_zero 0
		.amdhsa_exception_fp_ieee_overflow 0
		.amdhsa_exception_fp_ieee_underflow 0
		.amdhsa_exception_fp_ieee_inexact 0
		.amdhsa_exception_int_div_zero 0
	.end_amdhsa_kernel
	.section	.text._ZN2ck27kernel_gemm_xdl_cshuffle_v2INS_28GridwiseGemm_xdl_cshuffle_v2INS_13tensor_layout4gemm8RowMajorES4_S4_DF16_DF16_fDF16_DF16_NS_16tensor_operation12element_wise11PassThroughES7_S7_LNS5_6device18GemmSpecializationE0ELNS_25InMemoryDataOperationEnumE0ELi2ELi256ELi256ELi256ELi32ELi8ELi4ELi16ELi16ELi8ELi4ENS_8SequenceIJLi4ELi64ELi1EEEENSB_IJLi1ELi0ELi2EEEESD_Li2ELi8ELi8ELb0ELi0ENSB_IJLi8ELi32ELi1EEEENSB_IJLi0ELi2ELi1EEEESF_Li1ELi8ELi4ELb0ELi0ELi1ELi1ENSB_IJLi1ELi32ELi1ELi8EEEELi4ELNS_13LoopSchedulerE0ELNS_15PipelineVersionE0EDF16_DF16_EELb1ELi3EEEvNT_8ArgumentE,"axG",@progbits,_ZN2ck27kernel_gemm_xdl_cshuffle_v2INS_28GridwiseGemm_xdl_cshuffle_v2INS_13tensor_layout4gemm8RowMajorES4_S4_DF16_DF16_fDF16_DF16_NS_16tensor_operation12element_wise11PassThroughES7_S7_LNS5_6device18GemmSpecializationE0ELNS_25InMemoryDataOperationEnumE0ELi2ELi256ELi256ELi256ELi32ELi8ELi4ELi16ELi16ELi8ELi4ENS_8SequenceIJLi4ELi64ELi1EEEENSB_IJLi1ELi0ELi2EEEESD_Li2ELi8ELi8ELb0ELi0ENSB_IJLi8ELi32ELi1EEEENSB_IJLi0ELi2ELi1EEEESF_Li1ELi8ELi4ELb0ELi0ELi1ELi1ENSB_IJLi1ELi32ELi1ELi8EEEELi4ELNS_13LoopSchedulerE0ELNS_15PipelineVersionE0EDF16_DF16_EELb1ELi3EEEvNT_8ArgumentE,comdat
.Lfunc_end3:
	.size	_ZN2ck27kernel_gemm_xdl_cshuffle_v2INS_28GridwiseGemm_xdl_cshuffle_v2INS_13tensor_layout4gemm8RowMajorES4_S4_DF16_DF16_fDF16_DF16_NS_16tensor_operation12element_wise11PassThroughES7_S7_LNS5_6device18GemmSpecializationE0ELNS_25InMemoryDataOperationEnumE0ELi2ELi256ELi256ELi256ELi32ELi8ELi4ELi16ELi16ELi8ELi4ENS_8SequenceIJLi4ELi64ELi1EEEENSB_IJLi1ELi0ELi2EEEESD_Li2ELi8ELi8ELb0ELi0ENSB_IJLi8ELi32ELi1EEEENSB_IJLi0ELi2ELi1EEEESF_Li1ELi8ELi4ELb0ELi0ELi1ELi1ENSB_IJLi1ELi32ELi1ELi8EEEELi4ELNS_13LoopSchedulerE0ELNS_15PipelineVersionE0EDF16_DF16_EELb1ELi3EEEvNT_8ArgumentE, .Lfunc_end3-_ZN2ck27kernel_gemm_xdl_cshuffle_v2INS_28GridwiseGemm_xdl_cshuffle_v2INS_13tensor_layout4gemm8RowMajorES4_S4_DF16_DF16_fDF16_DF16_NS_16tensor_operation12element_wise11PassThroughES7_S7_LNS5_6device18GemmSpecializationE0ELNS_25InMemoryDataOperationEnumE0ELi2ELi256ELi256ELi256ELi32ELi8ELi4ELi16ELi16ELi8ELi4ENS_8SequenceIJLi4ELi64ELi1EEEENSB_IJLi1ELi0ELi2EEEESD_Li2ELi8ELi8ELb0ELi0ENSB_IJLi8ELi32ELi1EEEENSB_IJLi0ELi2ELi1EEEESF_Li1ELi8ELi4ELb0ELi0ELi1ELi1ENSB_IJLi1ELi32ELi1ELi8EEEELi4ELNS_13LoopSchedulerE0ELNS_15PipelineVersionE0EDF16_DF16_EELb1ELi3EEEvNT_8ArgumentE
                                        ; -- End function
	.section	.AMDGPU.csdata,"",@progbits
; Kernel info:
; codeLenInByte = 4
; NumSgprs: 4
; NumVgprs: 0
; NumAgprs: 0
; TotalNumVgprs: 0
; ScratchSize: 0
; MemoryBound: 0
; FloatMode: 240
; IeeeMode: 1
; LDSByteSize: 0 bytes/workgroup (compile time only)
; SGPRBlocks: 0
; VGPRBlocks: 0
; NumSGPRsForWavesPerEU: 4
; NumVGPRsForWavesPerEU: 1
; AccumOffset: 4
; Occupancy: 8
; WaveLimiterHint : 0
; COMPUTE_PGM_RSRC2:SCRATCH_EN: 0
; COMPUTE_PGM_RSRC2:USER_SGPR: 6
; COMPUTE_PGM_RSRC2:TRAP_HANDLER: 0
; COMPUTE_PGM_RSRC2:TGID_X_EN: 1
; COMPUTE_PGM_RSRC2:TGID_Y_EN: 0
; COMPUTE_PGM_RSRC2:TGID_Z_EN: 0
; COMPUTE_PGM_RSRC2:TIDIG_COMP_CNT: 0
; COMPUTE_PGM_RSRC3_GFX90A:ACCUM_OFFSET: 0
; COMPUTE_PGM_RSRC3_GFX90A:TG_SPLIT: 0
	.section	.text._ZN2ck27kernel_gemm_xdl_cshuffle_v2INS_28GridwiseGemm_xdl_cshuffle_v2INS_13tensor_layout4gemm8RowMajorES4_S4_DF16_DF16_fDF16_DF16_NS_16tensor_operation12element_wise11PassThroughES7_S7_LNS5_6device18GemmSpecializationE0ELNS_25InMemoryDataOperationEnumE0ELi2ELi256ELi256ELi256ELi32ELi8ELi4ELi16ELi16ELi8ELi4ENS_8SequenceIJLi4ELi64ELi1EEEENSB_IJLi1ELi0ELi2EEEESD_Li2ELi8ELi8ELb0ELi0ENSB_IJLi8ELi32ELi1EEEENSB_IJLi0ELi2ELi1EEEESF_Li1ELi8ELi4ELb0ELi0ELi1ELi1ENSB_IJLi1ELi32ELi1ELi8EEEELi4ELNS_13LoopSchedulerE0ELNS_15PipelineVersionE0EDF16_DF16_EELb1ELi2EEEvNT_8ArgumentE,"axG",@progbits,_ZN2ck27kernel_gemm_xdl_cshuffle_v2INS_28GridwiseGemm_xdl_cshuffle_v2INS_13tensor_layout4gemm8RowMajorES4_S4_DF16_DF16_fDF16_DF16_NS_16tensor_operation12element_wise11PassThroughES7_S7_LNS5_6device18GemmSpecializationE0ELNS_25InMemoryDataOperationEnumE0ELi2ELi256ELi256ELi256ELi32ELi8ELi4ELi16ELi16ELi8ELi4ENS_8SequenceIJLi4ELi64ELi1EEEENSB_IJLi1ELi0ELi2EEEESD_Li2ELi8ELi8ELb0ELi0ENSB_IJLi8ELi32ELi1EEEENSB_IJLi0ELi2ELi1EEEESF_Li1ELi8ELi4ELb0ELi0ELi1ELi1ENSB_IJLi1ELi32ELi1ELi8EEEELi4ELNS_13LoopSchedulerE0ELNS_15PipelineVersionE0EDF16_DF16_EELb1ELi2EEEvNT_8ArgumentE,comdat
	.protected	_ZN2ck27kernel_gemm_xdl_cshuffle_v2INS_28GridwiseGemm_xdl_cshuffle_v2INS_13tensor_layout4gemm8RowMajorES4_S4_DF16_DF16_fDF16_DF16_NS_16tensor_operation12element_wise11PassThroughES7_S7_LNS5_6device18GemmSpecializationE0ELNS_25InMemoryDataOperationEnumE0ELi2ELi256ELi256ELi256ELi32ELi8ELi4ELi16ELi16ELi8ELi4ENS_8SequenceIJLi4ELi64ELi1EEEENSB_IJLi1ELi0ELi2EEEESD_Li2ELi8ELi8ELb0ELi0ENSB_IJLi8ELi32ELi1EEEENSB_IJLi0ELi2ELi1EEEESF_Li1ELi8ELi4ELb0ELi0ELi1ELi1ENSB_IJLi1ELi32ELi1ELi8EEEELi4ELNS_13LoopSchedulerE0ELNS_15PipelineVersionE0EDF16_DF16_EELb1ELi2EEEvNT_8ArgumentE ; -- Begin function _ZN2ck27kernel_gemm_xdl_cshuffle_v2INS_28GridwiseGemm_xdl_cshuffle_v2INS_13tensor_layout4gemm8RowMajorES4_S4_DF16_DF16_fDF16_DF16_NS_16tensor_operation12element_wise11PassThroughES7_S7_LNS5_6device18GemmSpecializationE0ELNS_25InMemoryDataOperationEnumE0ELi2ELi256ELi256ELi256ELi32ELi8ELi4ELi16ELi16ELi8ELi4ENS_8SequenceIJLi4ELi64ELi1EEEENSB_IJLi1ELi0ELi2EEEESD_Li2ELi8ELi8ELb0ELi0ENSB_IJLi8ELi32ELi1EEEENSB_IJLi0ELi2ELi1EEEESF_Li1ELi8ELi4ELb0ELi0ELi1ELi1ENSB_IJLi1ELi32ELi1ELi8EEEELi4ELNS_13LoopSchedulerE0ELNS_15PipelineVersionE0EDF16_DF16_EELb1ELi2EEEvNT_8ArgumentE
	.globl	_ZN2ck27kernel_gemm_xdl_cshuffle_v2INS_28GridwiseGemm_xdl_cshuffle_v2INS_13tensor_layout4gemm8RowMajorES4_S4_DF16_DF16_fDF16_DF16_NS_16tensor_operation12element_wise11PassThroughES7_S7_LNS5_6device18GemmSpecializationE0ELNS_25InMemoryDataOperationEnumE0ELi2ELi256ELi256ELi256ELi32ELi8ELi4ELi16ELi16ELi8ELi4ENS_8SequenceIJLi4ELi64ELi1EEEENSB_IJLi1ELi0ELi2EEEESD_Li2ELi8ELi8ELb0ELi0ENSB_IJLi8ELi32ELi1EEEENSB_IJLi0ELi2ELi1EEEESF_Li1ELi8ELi4ELb0ELi0ELi1ELi1ENSB_IJLi1ELi32ELi1ELi8EEEELi4ELNS_13LoopSchedulerE0ELNS_15PipelineVersionE0EDF16_DF16_EELb1ELi2EEEvNT_8ArgumentE
	.p2align	8
	.type	_ZN2ck27kernel_gemm_xdl_cshuffle_v2INS_28GridwiseGemm_xdl_cshuffle_v2INS_13tensor_layout4gemm8RowMajorES4_S4_DF16_DF16_fDF16_DF16_NS_16tensor_operation12element_wise11PassThroughES7_S7_LNS5_6device18GemmSpecializationE0ELNS_25InMemoryDataOperationEnumE0ELi2ELi256ELi256ELi256ELi32ELi8ELi4ELi16ELi16ELi8ELi4ENS_8SequenceIJLi4ELi64ELi1EEEENSB_IJLi1ELi0ELi2EEEESD_Li2ELi8ELi8ELb0ELi0ENSB_IJLi8ELi32ELi1EEEENSB_IJLi0ELi2ELi1EEEESF_Li1ELi8ELi4ELb0ELi0ELi1ELi1ENSB_IJLi1ELi32ELi1ELi8EEEELi4ELNS_13LoopSchedulerE0ELNS_15PipelineVersionE0EDF16_DF16_EELb1ELi2EEEvNT_8ArgumentE,@function
_ZN2ck27kernel_gemm_xdl_cshuffle_v2INS_28GridwiseGemm_xdl_cshuffle_v2INS_13tensor_layout4gemm8RowMajorES4_S4_DF16_DF16_fDF16_DF16_NS_16tensor_operation12element_wise11PassThroughES7_S7_LNS5_6device18GemmSpecializationE0ELNS_25InMemoryDataOperationEnumE0ELi2ELi256ELi256ELi256ELi32ELi8ELi4ELi16ELi16ELi8ELi4ENS_8SequenceIJLi4ELi64ELi1EEEENSB_IJLi1ELi0ELi2EEEESD_Li2ELi8ELi8ELb0ELi0ENSB_IJLi8ELi32ELi1EEEENSB_IJLi0ELi2ELi1EEEESF_Li1ELi8ELi4ELb0ELi0ELi1ELi1ENSB_IJLi1ELi32ELi1ELi8EEEELi4ELNS_13LoopSchedulerE0ELNS_15PipelineVersionE0EDF16_DF16_EELb1ELi2EEEvNT_8ArgumentE: ; @_ZN2ck27kernel_gemm_xdl_cshuffle_v2INS_28GridwiseGemm_xdl_cshuffle_v2INS_13tensor_layout4gemm8RowMajorES4_S4_DF16_DF16_fDF16_DF16_NS_16tensor_operation12element_wise11PassThroughES7_S7_LNS5_6device18GemmSpecializationE0ELNS_25InMemoryDataOperationEnumE0ELi2ELi256ELi256ELi256ELi32ELi8ELi4ELi16ELi16ELi8ELi4ENS_8SequenceIJLi4ELi64ELi1EEEENSB_IJLi1ELi0ELi2EEEESD_Li2ELi8ELi8ELb0ELi0ENSB_IJLi8ELi32ELi1EEEENSB_IJLi0ELi2ELi1EEEESF_Li1ELi8ELi4ELb0ELi0ELi1ELi1ENSB_IJLi1ELi32ELi1ELi8EEEELi4ELNS_13LoopSchedulerE0ELNS_15PipelineVersionE0EDF16_DF16_EELb1ELi2EEEvNT_8ArgumentE
; %bb.0:
	s_endpgm
	.section	.rodata,"a",@progbits
	.p2align	6, 0x0
	.amdhsa_kernel _ZN2ck27kernel_gemm_xdl_cshuffle_v2INS_28GridwiseGemm_xdl_cshuffle_v2INS_13tensor_layout4gemm8RowMajorES4_S4_DF16_DF16_fDF16_DF16_NS_16tensor_operation12element_wise11PassThroughES7_S7_LNS5_6device18GemmSpecializationE0ELNS_25InMemoryDataOperationEnumE0ELi2ELi256ELi256ELi256ELi32ELi8ELi4ELi16ELi16ELi8ELi4ENS_8SequenceIJLi4ELi64ELi1EEEENSB_IJLi1ELi0ELi2EEEESD_Li2ELi8ELi8ELb0ELi0ENSB_IJLi8ELi32ELi1EEEENSB_IJLi0ELi2ELi1EEEESF_Li1ELi8ELi4ELb0ELi0ELi1ELi1ENSB_IJLi1ELi32ELi1ELi8EEEELi4ELNS_13LoopSchedulerE0ELNS_15PipelineVersionE0EDF16_DF16_EELb1ELi2EEEvNT_8ArgumentE
		.amdhsa_group_segment_fixed_size 0
		.amdhsa_private_segment_fixed_size 0
		.amdhsa_kernarg_size 96
		.amdhsa_user_sgpr_count 6
		.amdhsa_user_sgpr_private_segment_buffer 1
		.amdhsa_user_sgpr_dispatch_ptr 0
		.amdhsa_user_sgpr_queue_ptr 0
		.amdhsa_user_sgpr_kernarg_segment_ptr 1
		.amdhsa_user_sgpr_dispatch_id 0
		.amdhsa_user_sgpr_flat_scratch_init 0
		.amdhsa_user_sgpr_kernarg_preload_length 0
		.amdhsa_user_sgpr_kernarg_preload_offset 0
		.amdhsa_user_sgpr_private_segment_size 0
		.amdhsa_uses_dynamic_stack 0
		.amdhsa_system_sgpr_private_segment_wavefront_offset 0
		.amdhsa_system_sgpr_workgroup_id_x 1
		.amdhsa_system_sgpr_workgroup_id_y 0
		.amdhsa_system_sgpr_workgroup_id_z 0
		.amdhsa_system_sgpr_workgroup_info 0
		.amdhsa_system_vgpr_workitem_id 0
		.amdhsa_next_free_vgpr 1
		.amdhsa_next_free_sgpr 0
		.amdhsa_accum_offset 4
		.amdhsa_reserve_vcc 0
		.amdhsa_reserve_flat_scratch 0
		.amdhsa_float_round_mode_32 0
		.amdhsa_float_round_mode_16_64 0
		.amdhsa_float_denorm_mode_32 3
		.amdhsa_float_denorm_mode_16_64 3
		.amdhsa_dx10_clamp 1
		.amdhsa_ieee_mode 1
		.amdhsa_fp16_overflow 0
		.amdhsa_tg_split 0
		.amdhsa_exception_fp_ieee_invalid_op 0
		.amdhsa_exception_fp_denorm_src 0
		.amdhsa_exception_fp_ieee_div_zero 0
		.amdhsa_exception_fp_ieee_overflow 0
		.amdhsa_exception_fp_ieee_underflow 0
		.amdhsa_exception_fp_ieee_inexact 0
		.amdhsa_exception_int_div_zero 0
	.end_amdhsa_kernel
	.section	.text._ZN2ck27kernel_gemm_xdl_cshuffle_v2INS_28GridwiseGemm_xdl_cshuffle_v2INS_13tensor_layout4gemm8RowMajorES4_S4_DF16_DF16_fDF16_DF16_NS_16tensor_operation12element_wise11PassThroughES7_S7_LNS5_6device18GemmSpecializationE0ELNS_25InMemoryDataOperationEnumE0ELi2ELi256ELi256ELi256ELi32ELi8ELi4ELi16ELi16ELi8ELi4ENS_8SequenceIJLi4ELi64ELi1EEEENSB_IJLi1ELi0ELi2EEEESD_Li2ELi8ELi8ELb0ELi0ENSB_IJLi8ELi32ELi1EEEENSB_IJLi0ELi2ELi1EEEESF_Li1ELi8ELi4ELb0ELi0ELi1ELi1ENSB_IJLi1ELi32ELi1ELi8EEEELi4ELNS_13LoopSchedulerE0ELNS_15PipelineVersionE0EDF16_DF16_EELb1ELi2EEEvNT_8ArgumentE,"axG",@progbits,_ZN2ck27kernel_gemm_xdl_cshuffle_v2INS_28GridwiseGemm_xdl_cshuffle_v2INS_13tensor_layout4gemm8RowMajorES4_S4_DF16_DF16_fDF16_DF16_NS_16tensor_operation12element_wise11PassThroughES7_S7_LNS5_6device18GemmSpecializationE0ELNS_25InMemoryDataOperationEnumE0ELi2ELi256ELi256ELi256ELi32ELi8ELi4ELi16ELi16ELi8ELi4ENS_8SequenceIJLi4ELi64ELi1EEEENSB_IJLi1ELi0ELi2EEEESD_Li2ELi8ELi8ELb0ELi0ENSB_IJLi8ELi32ELi1EEEENSB_IJLi0ELi2ELi1EEEESF_Li1ELi8ELi4ELb0ELi0ELi1ELi1ENSB_IJLi1ELi32ELi1ELi8EEEELi4ELNS_13LoopSchedulerE0ELNS_15PipelineVersionE0EDF16_DF16_EELb1ELi2EEEvNT_8ArgumentE,comdat
.Lfunc_end4:
	.size	_ZN2ck27kernel_gemm_xdl_cshuffle_v2INS_28GridwiseGemm_xdl_cshuffle_v2INS_13tensor_layout4gemm8RowMajorES4_S4_DF16_DF16_fDF16_DF16_NS_16tensor_operation12element_wise11PassThroughES7_S7_LNS5_6device18GemmSpecializationE0ELNS_25InMemoryDataOperationEnumE0ELi2ELi256ELi256ELi256ELi32ELi8ELi4ELi16ELi16ELi8ELi4ENS_8SequenceIJLi4ELi64ELi1EEEENSB_IJLi1ELi0ELi2EEEESD_Li2ELi8ELi8ELb0ELi0ENSB_IJLi8ELi32ELi1EEEENSB_IJLi0ELi2ELi1EEEESF_Li1ELi8ELi4ELb0ELi0ELi1ELi1ENSB_IJLi1ELi32ELi1ELi8EEEELi4ELNS_13LoopSchedulerE0ELNS_15PipelineVersionE0EDF16_DF16_EELb1ELi2EEEvNT_8ArgumentE, .Lfunc_end4-_ZN2ck27kernel_gemm_xdl_cshuffle_v2INS_28GridwiseGemm_xdl_cshuffle_v2INS_13tensor_layout4gemm8RowMajorES4_S4_DF16_DF16_fDF16_DF16_NS_16tensor_operation12element_wise11PassThroughES7_S7_LNS5_6device18GemmSpecializationE0ELNS_25InMemoryDataOperationEnumE0ELi2ELi256ELi256ELi256ELi32ELi8ELi4ELi16ELi16ELi8ELi4ENS_8SequenceIJLi4ELi64ELi1EEEENSB_IJLi1ELi0ELi2EEEESD_Li2ELi8ELi8ELb0ELi0ENSB_IJLi8ELi32ELi1EEEENSB_IJLi0ELi2ELi1EEEESF_Li1ELi8ELi4ELb0ELi0ELi1ELi1ENSB_IJLi1ELi32ELi1ELi8EEEELi4ELNS_13LoopSchedulerE0ELNS_15PipelineVersionE0EDF16_DF16_EELb1ELi2EEEvNT_8ArgumentE
                                        ; -- End function
	.section	.AMDGPU.csdata,"",@progbits
; Kernel info:
; codeLenInByte = 4
; NumSgprs: 4
; NumVgprs: 0
; NumAgprs: 0
; TotalNumVgprs: 0
; ScratchSize: 0
; MemoryBound: 0
; FloatMode: 240
; IeeeMode: 1
; LDSByteSize: 0 bytes/workgroup (compile time only)
; SGPRBlocks: 0
; VGPRBlocks: 0
; NumSGPRsForWavesPerEU: 4
; NumVGPRsForWavesPerEU: 1
; AccumOffset: 4
; Occupancy: 8
; WaveLimiterHint : 0
; COMPUTE_PGM_RSRC2:SCRATCH_EN: 0
; COMPUTE_PGM_RSRC2:USER_SGPR: 6
; COMPUTE_PGM_RSRC2:TRAP_HANDLER: 0
; COMPUTE_PGM_RSRC2:TGID_X_EN: 1
; COMPUTE_PGM_RSRC2:TGID_Y_EN: 0
; COMPUTE_PGM_RSRC2:TGID_Z_EN: 0
; COMPUTE_PGM_RSRC2:TIDIG_COMP_CNT: 0
; COMPUTE_PGM_RSRC3_GFX90A:ACCUM_OFFSET: 0
; COMPUTE_PGM_RSRC3_GFX90A:TG_SPLIT: 0
	.section	.text._ZN2ck17naive_gemm_kernelINS_13tensor_layout4gemm8RowMajorES3_S3_DF16_DF16_DF16_fNS_16tensor_operation12element_wise11PassThroughES6_S6_DF16_DF16_EEvPKT2_PKT3_PT4_iiiT6_T7_T8_,"axG",@progbits,_ZN2ck17naive_gemm_kernelINS_13tensor_layout4gemm8RowMajorES3_S3_DF16_DF16_DF16_fNS_16tensor_operation12element_wise11PassThroughES6_S6_DF16_DF16_EEvPKT2_PKT3_PT4_iiiT6_T7_T8_,comdat
	.protected	_ZN2ck17naive_gemm_kernelINS_13tensor_layout4gemm8RowMajorES3_S3_DF16_DF16_DF16_fNS_16tensor_operation12element_wise11PassThroughES6_S6_DF16_DF16_EEvPKT2_PKT3_PT4_iiiT6_T7_T8_ ; -- Begin function _ZN2ck17naive_gemm_kernelINS_13tensor_layout4gemm8RowMajorES3_S3_DF16_DF16_DF16_fNS_16tensor_operation12element_wise11PassThroughES6_S6_DF16_DF16_EEvPKT2_PKT3_PT4_iiiT6_T7_T8_
	.globl	_ZN2ck17naive_gemm_kernelINS_13tensor_layout4gemm8RowMajorES3_S3_DF16_DF16_DF16_fNS_16tensor_operation12element_wise11PassThroughES6_S6_DF16_DF16_EEvPKT2_PKT3_PT4_iiiT6_T7_T8_
	.p2align	8
	.type	_ZN2ck17naive_gemm_kernelINS_13tensor_layout4gemm8RowMajorES3_S3_DF16_DF16_DF16_fNS_16tensor_operation12element_wise11PassThroughES6_S6_DF16_DF16_EEvPKT2_PKT3_PT4_iiiT6_T7_T8_,@function
_ZN2ck17naive_gemm_kernelINS_13tensor_layout4gemm8RowMajorES3_S3_DF16_DF16_DF16_fNS_16tensor_operation12element_wise11PassThroughES6_S6_DF16_DF16_EEvPKT2_PKT3_PT4_iiiT6_T7_T8_: ; @_ZN2ck17naive_gemm_kernelINS_13tensor_layout4gemm8RowMajorES3_S3_DF16_DF16_DF16_fNS_16tensor_operation12element_wise11PassThroughES6_S6_DF16_DF16_EEvPKT2_PKT3_PT4_iiiT6_T7_T8_
; %bb.0:
	s_load_dword s0, s[4:5], 0x34
	s_load_dwordx4 s[8:11], s[4:5], 0x18
	v_and_b32_e32 v1, 0x3ff, v0
	v_bfe_u32 v0, v0, 10, 10
	s_waitcnt lgkmcnt(0)
	s_lshr_b32 s1, s0, 16
	s_and_b32 s0, s0, 0xffff
	s_mul_i32 s6, s6, s0
	s_mul_i32 s7, s7, s1
	v_add_u32_e32 v1, s6, v1
	v_add_u32_e32 v0, s7, v0
	v_cmp_gt_i32_e32 vcc, s8, v1
	v_cmp_gt_i32_e64 s[0:1], s9, v0
	s_and_b64 s[0:1], vcc, s[0:1]
	s_and_saveexec_b64 s[2:3], s[0:1]
	s_cbranch_execz .LBB5_7
; %bb.1:
	s_load_dwordx2 s[6:7], s[4:5], 0x10
	s_cmp_lt_i32 s10, 1
	s_cbranch_scc1 .LBB5_5
; %bb.2:
	s_load_dwordx4 s[0:3], s[4:5], 0x0
	v_mul_lo_u32 v2, v1, s10
	v_ashrrev_i32_e32 v3, 31, v2
	v_lshlrev_b64 v[2:3], 1, v[2:3]
	v_mov_b32_e32 v6, 0
	s_waitcnt lgkmcnt(0)
	v_mov_b32_e32 v4, s1
	v_add_co_u32_e32 v2, vcc, s0, v2
	v_addc_co_u32_e32 v3, vcc, v4, v3, vcc
	v_mov_b32_e32 v7, s3
	v_mov_b32_e32 v4, v0
.LBB5_3:                                ; =>This Inner Loop Header: Depth=1
	v_ashrrev_i32_e32 v5, 31, v4
	v_lshlrev_b64 v[8:9], 1, v[4:5]
	v_add_co_u32_e32 v8, vcc, s2, v8
	v_addc_co_u32_e32 v9, vcc, v7, v9, vcc
	global_load_ushort v10, v[2:3], off
	global_load_ushort v5, v[8:9], off
	s_add_i32 s10, s10, -1
	v_add_co_u32_e32 v2, vcc, 2, v2
	v_addc_co_u32_e32 v3, vcc, 0, v3, vcc
	v_add_u32_e32 v4, s9, v4
	s_cmp_eq_u32 s10, 0
	s_waitcnt vmcnt(0)
	v_fma_mix_f32 v6, v10, v5, v6 op_sel_hi:[1,1,0]
	s_cbranch_scc0 .LBB5_3
; %bb.4:
	v_cvt_f16_f32_e32 v2, v6
	s_branch .LBB5_6
.LBB5_5:
	v_mov_b32_e32 v2, 0
.LBB5_6:
	v_mad_u64_u32 v[0:1], s[0:1], v1, s9, v[0:1]
	v_ashrrev_i32_e32 v1, 31, v0
	v_lshlrev_b64 v[0:1], 1, v[0:1]
	s_waitcnt lgkmcnt(0)
	v_mov_b32_e32 v3, s7
	v_add_co_u32_e32 v0, vcc, s6, v0
	v_addc_co_u32_e32 v1, vcc, v3, v1, vcc
	global_store_short v[0:1], v2, off
.LBB5_7:
	s_endpgm
	.section	.rodata,"a",@progbits
	.p2align	6, 0x0
	.amdhsa_kernel _ZN2ck17naive_gemm_kernelINS_13tensor_layout4gemm8RowMajorES3_S3_DF16_DF16_DF16_fNS_16tensor_operation12element_wise11PassThroughES6_S6_DF16_DF16_EEvPKT2_PKT3_PT4_iiiT6_T7_T8_
		.amdhsa_group_segment_fixed_size 0
		.amdhsa_private_segment_fixed_size 0
		.amdhsa_kernarg_size 296
		.amdhsa_user_sgpr_count 6
		.amdhsa_user_sgpr_private_segment_buffer 1
		.amdhsa_user_sgpr_dispatch_ptr 0
		.amdhsa_user_sgpr_queue_ptr 0
		.amdhsa_user_sgpr_kernarg_segment_ptr 1
		.amdhsa_user_sgpr_dispatch_id 0
		.amdhsa_user_sgpr_flat_scratch_init 0
		.amdhsa_user_sgpr_kernarg_preload_length 0
		.amdhsa_user_sgpr_kernarg_preload_offset 0
		.amdhsa_user_sgpr_private_segment_size 0
		.amdhsa_uses_dynamic_stack 0
		.amdhsa_system_sgpr_private_segment_wavefront_offset 0
		.amdhsa_system_sgpr_workgroup_id_x 1
		.amdhsa_system_sgpr_workgroup_id_y 1
		.amdhsa_system_sgpr_workgroup_id_z 0
		.amdhsa_system_sgpr_workgroup_info 0
		.amdhsa_system_vgpr_workitem_id 1
		.amdhsa_next_free_vgpr 11
		.amdhsa_next_free_sgpr 12
		.amdhsa_accum_offset 12
		.amdhsa_reserve_vcc 1
		.amdhsa_reserve_flat_scratch 0
		.amdhsa_float_round_mode_32 0
		.amdhsa_float_round_mode_16_64 0
		.amdhsa_float_denorm_mode_32 3
		.amdhsa_float_denorm_mode_16_64 3
		.amdhsa_dx10_clamp 1
		.amdhsa_ieee_mode 1
		.amdhsa_fp16_overflow 0
		.amdhsa_tg_split 0
		.amdhsa_exception_fp_ieee_invalid_op 0
		.amdhsa_exception_fp_denorm_src 0
		.amdhsa_exception_fp_ieee_div_zero 0
		.amdhsa_exception_fp_ieee_overflow 0
		.amdhsa_exception_fp_ieee_underflow 0
		.amdhsa_exception_fp_ieee_inexact 0
		.amdhsa_exception_int_div_zero 0
	.end_amdhsa_kernel
	.section	.text._ZN2ck17naive_gemm_kernelINS_13tensor_layout4gemm8RowMajorES3_S3_DF16_DF16_DF16_fNS_16tensor_operation12element_wise11PassThroughES6_S6_DF16_DF16_EEvPKT2_PKT3_PT4_iiiT6_T7_T8_,"axG",@progbits,_ZN2ck17naive_gemm_kernelINS_13tensor_layout4gemm8RowMajorES3_S3_DF16_DF16_DF16_fNS_16tensor_operation12element_wise11PassThroughES6_S6_DF16_DF16_EEvPKT2_PKT3_PT4_iiiT6_T7_T8_,comdat
.Lfunc_end5:
	.size	_ZN2ck17naive_gemm_kernelINS_13tensor_layout4gemm8RowMajorES3_S3_DF16_DF16_DF16_fNS_16tensor_operation12element_wise11PassThroughES6_S6_DF16_DF16_EEvPKT2_PKT3_PT4_iiiT6_T7_T8_, .Lfunc_end5-_ZN2ck17naive_gemm_kernelINS_13tensor_layout4gemm8RowMajorES3_S3_DF16_DF16_DF16_fNS_16tensor_operation12element_wise11PassThroughES6_S6_DF16_DF16_EEvPKT2_PKT3_PT4_iiiT6_T7_T8_
                                        ; -- End function
	.section	.AMDGPU.csdata,"",@progbits
; Kernel info:
; codeLenInByte = 292
; NumSgprs: 16
; NumVgprs: 11
; NumAgprs: 0
; TotalNumVgprs: 11
; ScratchSize: 0
; MemoryBound: 0
; FloatMode: 240
; IeeeMode: 1
; LDSByteSize: 0 bytes/workgroup (compile time only)
; SGPRBlocks: 1
; VGPRBlocks: 1
; NumSGPRsForWavesPerEU: 16
; NumVGPRsForWavesPerEU: 11
; AccumOffset: 12
; Occupancy: 8
; WaveLimiterHint : 0
; COMPUTE_PGM_RSRC2:SCRATCH_EN: 0
; COMPUTE_PGM_RSRC2:USER_SGPR: 6
; COMPUTE_PGM_RSRC2:TRAP_HANDLER: 0
; COMPUTE_PGM_RSRC2:TGID_X_EN: 1
; COMPUTE_PGM_RSRC2:TGID_Y_EN: 1
; COMPUTE_PGM_RSRC2:TGID_Z_EN: 0
; COMPUTE_PGM_RSRC2:TIDIG_COMP_CNT: 1
; COMPUTE_PGM_RSRC3_GFX90A:ACCUM_OFFSET: 2
; COMPUTE_PGM_RSRC3_GFX90A:TG_SPLIT: 0
	.text
	.p2alignl 6, 3212836864
	.fill 256, 4, 3212836864
	.type	__hip_cuid_d0f39758afd807d6,@object ; @__hip_cuid_d0f39758afd807d6
	.section	.bss,"aw",@nobits
	.globl	__hip_cuid_d0f39758afd807d6
__hip_cuid_d0f39758afd807d6:
	.byte	0                               ; 0x0
	.size	__hip_cuid_d0f39758afd807d6, 1

	.ident	"AMD clang version 19.0.0git (https://github.com/RadeonOpenCompute/llvm-project roc-6.4.0 25133 c7fe45cf4b819c5991fe208aaa96edf142730f1d)"
	.section	".note.GNU-stack","",@progbits
	.addrsig
	.addrsig_sym __hip_cuid_d0f39758afd807d6
	.amdgpu_metadata
---
amdhsa.kernels:
  - .agpr_count:     0
    .args:           []
    .group_segment_fixed_size: 0
    .kernarg_segment_align: 4
    .kernarg_segment_size: 0
    .language:       OpenCL C
    .language_version:
      - 2
      - 0
    .max_flat_workgroup_size: 1024
    .name:           _ZN2ckL12flush_icacheEv
    .private_segment_fixed_size: 0
    .sgpr_count:     4
    .sgpr_spill_count: 0
    .symbol:         _ZN2ckL12flush_icacheEv.kd
    .uniform_work_group_size: 1
    .uses_dynamic_stack: false
    .vgpr_count:     0
    .vgpr_spill_count: 0
    .wavefront_size: 64
  - .agpr_count:     256
    .args:
      - .offset:         0
        .size:           96
        .value_kind:     by_value
    .group_segment_fixed_size: 65536
    .kernarg_segment_align: 8
    .kernarg_segment_size: 96
    .language:       OpenCL C
    .language_version:
      - 2
      - 0
    .max_flat_workgroup_size: 256
    .name:           _ZN2ck27kernel_gemm_xdl_cshuffle_v2INS_28GridwiseGemm_xdl_cshuffle_v2INS_13tensor_layout4gemm8RowMajorES4_S4_DF16_DF16_fDF16_DF16_NS_16tensor_operation12element_wise11PassThroughES7_S7_LNS5_6device18GemmSpecializationE0ELNS_25InMemoryDataOperationEnumE0ELi2ELi256ELi256ELi256ELi32ELi8ELi4ELi16ELi16ELi8ELi8ENS_8SequenceIJLi4ELi64ELi1EEEENSB_IJLi1ELi0ELi2EEEESD_Li2ELi8ELi8ELb0ELi0ENSB_IJLi8ELi32ELi1EEEENSB_IJLi0ELi2ELi1EEEESF_Li1ELi8ELi4ELb0ELi0ELi1ELi1ENSB_IJLi1ELi32ELi1ELi8EEEELi4ELNS_13LoopSchedulerE0ELNS_15PipelineVersionE0EDF16_DF16_EELb1ELi3EEEvNT_8ArgumentE
    .private_segment_fixed_size: 0
    .sgpr_count:     31
    .sgpr_spill_count: 0
    .symbol:         _ZN2ck27kernel_gemm_xdl_cshuffle_v2INS_28GridwiseGemm_xdl_cshuffle_v2INS_13tensor_layout4gemm8RowMajorES4_S4_DF16_DF16_fDF16_DF16_NS_16tensor_operation12element_wise11PassThroughES7_S7_LNS5_6device18GemmSpecializationE0ELNS_25InMemoryDataOperationEnumE0ELi2ELi256ELi256ELi256ELi32ELi8ELi4ELi16ELi16ELi8ELi8ENS_8SequenceIJLi4ELi64ELi1EEEENSB_IJLi1ELi0ELi2EEEESD_Li2ELi8ELi8ELb0ELi0ENSB_IJLi8ELi32ELi1EEEENSB_IJLi0ELi2ELi1EEEESF_Li1ELi8ELi4ELb0ELi0ELi1ELi1ENSB_IJLi1ELi32ELi1ELi8EEEELi4ELNS_13LoopSchedulerE0ELNS_15PipelineVersionE0EDF16_DF16_EELb1ELi3EEEvNT_8ArgumentE.kd
    .uniform_work_group_size: 1
    .uses_dynamic_stack: false
    .vgpr_count:     440
    .vgpr_spill_count: 0
    .wavefront_size: 64
  - .agpr_count:     256
    .args:
      - .offset:         0
        .size:           96
        .value_kind:     by_value
    .group_segment_fixed_size: 65536
    .kernarg_segment_align: 8
    .kernarg_segment_size: 96
    .language:       OpenCL C
    .language_version:
      - 2
      - 0
    .max_flat_workgroup_size: 256
    .name:           _ZN2ck27kernel_gemm_xdl_cshuffle_v2INS_28GridwiseGemm_xdl_cshuffle_v2INS_13tensor_layout4gemm8RowMajorES4_S4_DF16_DF16_fDF16_DF16_NS_16tensor_operation12element_wise11PassThroughES7_S7_LNS5_6device18GemmSpecializationE0ELNS_25InMemoryDataOperationEnumE0ELi2ELi256ELi256ELi256ELi32ELi8ELi4ELi16ELi16ELi8ELi8ENS_8SequenceIJLi4ELi64ELi1EEEENSB_IJLi1ELi0ELi2EEEESD_Li2ELi8ELi8ELb0ELi0ENSB_IJLi8ELi32ELi1EEEENSB_IJLi0ELi2ELi1EEEESF_Li1ELi8ELi4ELb0ELi0ELi1ELi1ENSB_IJLi1ELi32ELi1ELi8EEEELi4ELNS_13LoopSchedulerE0ELNS_15PipelineVersionE0EDF16_DF16_EELb1ELi2EEEvNT_8ArgumentE
    .private_segment_fixed_size: 0
    .sgpr_count:     31
    .sgpr_spill_count: 0
    .symbol:         _ZN2ck27kernel_gemm_xdl_cshuffle_v2INS_28GridwiseGemm_xdl_cshuffle_v2INS_13tensor_layout4gemm8RowMajorES4_S4_DF16_DF16_fDF16_DF16_NS_16tensor_operation12element_wise11PassThroughES7_S7_LNS5_6device18GemmSpecializationE0ELNS_25InMemoryDataOperationEnumE0ELi2ELi256ELi256ELi256ELi32ELi8ELi4ELi16ELi16ELi8ELi8ENS_8SequenceIJLi4ELi64ELi1EEEENSB_IJLi1ELi0ELi2EEEESD_Li2ELi8ELi8ELb0ELi0ENSB_IJLi8ELi32ELi1EEEENSB_IJLi0ELi2ELi1EEEESF_Li1ELi8ELi4ELb0ELi0ELi1ELi1ENSB_IJLi1ELi32ELi1ELi8EEEELi4ELNS_13LoopSchedulerE0ELNS_15PipelineVersionE0EDF16_DF16_EELb1ELi2EEEvNT_8ArgumentE.kd
    .uniform_work_group_size: 1
    .uses_dynamic_stack: false
    .vgpr_count:     428
    .vgpr_spill_count: 0
    .wavefront_size: 64
  - .agpr_count:     0
    .args:
      - .offset:         0
        .size:           96
        .value_kind:     by_value
    .group_segment_fixed_size: 0
    .kernarg_segment_align: 8
    .kernarg_segment_size: 96
    .language:       OpenCL C
    .language_version:
      - 2
      - 0
    .max_flat_workgroup_size: 256
    .name:           _ZN2ck27kernel_gemm_xdl_cshuffle_v2INS_28GridwiseGemm_xdl_cshuffle_v2INS_13tensor_layout4gemm8RowMajorES4_S4_DF16_DF16_fDF16_DF16_NS_16tensor_operation12element_wise11PassThroughES7_S7_LNS5_6device18GemmSpecializationE0ELNS_25InMemoryDataOperationEnumE0ELi2ELi256ELi256ELi256ELi32ELi8ELi4ELi16ELi16ELi8ELi4ENS_8SequenceIJLi4ELi64ELi1EEEENSB_IJLi1ELi0ELi2EEEESD_Li2ELi8ELi8ELb0ELi0ENSB_IJLi8ELi32ELi1EEEENSB_IJLi0ELi2ELi1EEEESF_Li1ELi8ELi4ELb0ELi0ELi1ELi1ENSB_IJLi1ELi32ELi1ELi8EEEELi4ELNS_13LoopSchedulerE0ELNS_15PipelineVersionE0EDF16_DF16_EELb1ELi3EEEvNT_8ArgumentE
    .private_segment_fixed_size: 0
    .sgpr_count:     4
    .sgpr_spill_count: 0
    .symbol:         _ZN2ck27kernel_gemm_xdl_cshuffle_v2INS_28GridwiseGemm_xdl_cshuffle_v2INS_13tensor_layout4gemm8RowMajorES4_S4_DF16_DF16_fDF16_DF16_NS_16tensor_operation12element_wise11PassThroughES7_S7_LNS5_6device18GemmSpecializationE0ELNS_25InMemoryDataOperationEnumE0ELi2ELi256ELi256ELi256ELi32ELi8ELi4ELi16ELi16ELi8ELi4ENS_8SequenceIJLi4ELi64ELi1EEEENSB_IJLi1ELi0ELi2EEEESD_Li2ELi8ELi8ELb0ELi0ENSB_IJLi8ELi32ELi1EEEENSB_IJLi0ELi2ELi1EEEESF_Li1ELi8ELi4ELb0ELi0ELi1ELi1ENSB_IJLi1ELi32ELi1ELi8EEEELi4ELNS_13LoopSchedulerE0ELNS_15PipelineVersionE0EDF16_DF16_EELb1ELi3EEEvNT_8ArgumentE.kd
    .uniform_work_group_size: 1
    .uses_dynamic_stack: false
    .vgpr_count:     0
    .vgpr_spill_count: 0
    .wavefront_size: 64
  - .agpr_count:     0
    .args:
      - .offset:         0
        .size:           96
        .value_kind:     by_value
    .group_segment_fixed_size: 0
    .kernarg_segment_align: 8
    .kernarg_segment_size: 96
    .language:       OpenCL C
    .language_version:
      - 2
      - 0
    .max_flat_workgroup_size: 256
    .name:           _ZN2ck27kernel_gemm_xdl_cshuffle_v2INS_28GridwiseGemm_xdl_cshuffle_v2INS_13tensor_layout4gemm8RowMajorES4_S4_DF16_DF16_fDF16_DF16_NS_16tensor_operation12element_wise11PassThroughES7_S7_LNS5_6device18GemmSpecializationE0ELNS_25InMemoryDataOperationEnumE0ELi2ELi256ELi256ELi256ELi32ELi8ELi4ELi16ELi16ELi8ELi4ENS_8SequenceIJLi4ELi64ELi1EEEENSB_IJLi1ELi0ELi2EEEESD_Li2ELi8ELi8ELb0ELi0ENSB_IJLi8ELi32ELi1EEEENSB_IJLi0ELi2ELi1EEEESF_Li1ELi8ELi4ELb0ELi0ELi1ELi1ENSB_IJLi1ELi32ELi1ELi8EEEELi4ELNS_13LoopSchedulerE0ELNS_15PipelineVersionE0EDF16_DF16_EELb1ELi2EEEvNT_8ArgumentE
    .private_segment_fixed_size: 0
    .sgpr_count:     4
    .sgpr_spill_count: 0
    .symbol:         _ZN2ck27kernel_gemm_xdl_cshuffle_v2INS_28GridwiseGemm_xdl_cshuffle_v2INS_13tensor_layout4gemm8RowMajorES4_S4_DF16_DF16_fDF16_DF16_NS_16tensor_operation12element_wise11PassThroughES7_S7_LNS5_6device18GemmSpecializationE0ELNS_25InMemoryDataOperationEnumE0ELi2ELi256ELi256ELi256ELi32ELi8ELi4ELi16ELi16ELi8ELi4ENS_8SequenceIJLi4ELi64ELi1EEEENSB_IJLi1ELi0ELi2EEEESD_Li2ELi8ELi8ELb0ELi0ENSB_IJLi8ELi32ELi1EEEENSB_IJLi0ELi2ELi1EEEESF_Li1ELi8ELi4ELb0ELi0ELi1ELi1ENSB_IJLi1ELi32ELi1ELi8EEEELi4ELNS_13LoopSchedulerE0ELNS_15PipelineVersionE0EDF16_DF16_EELb1ELi2EEEvNT_8ArgumentE.kd
    .uniform_work_group_size: 1
    .uses_dynamic_stack: false
    .vgpr_count:     0
    .vgpr_spill_count: 0
    .wavefront_size: 64
  - .agpr_count:     0
    .args:
      - .actual_access:  read_only
        .address_space:  global
        .offset:         0
        .size:           8
        .value_kind:     global_buffer
      - .actual_access:  read_only
        .address_space:  global
        .offset:         8
        .size:           8
        .value_kind:     global_buffer
      - .actual_access:  write_only
        .address_space:  global
        .offset:         16
        .size:           8
        .value_kind:     global_buffer
      - .offset:         24
        .size:           4
        .value_kind:     by_value
      - .offset:         28
        .size:           4
        .value_kind:     by_value
      - .offset:         32
        .size:           4
        .value_kind:     by_value
      - .offset:         36
        .size:           1
        .value_kind:     by_value
      - .offset:         37
        .size:           1
        .value_kind:     by_value
      - .offset:         38
        .size:           1
        .value_kind:     by_value
      - .offset:         40
        .size:           4
        .value_kind:     hidden_block_count_x
      - .offset:         44
        .size:           4
        .value_kind:     hidden_block_count_y
      - .offset:         48
        .size:           4
        .value_kind:     hidden_block_count_z
      - .offset:         52
        .size:           2
        .value_kind:     hidden_group_size_x
      - .offset:         54
        .size:           2
        .value_kind:     hidden_group_size_y
      - .offset:         56
        .size:           2
        .value_kind:     hidden_group_size_z
      - .offset:         58
        .size:           2
        .value_kind:     hidden_remainder_x
      - .offset:         60
        .size:           2
        .value_kind:     hidden_remainder_y
      - .offset:         62
        .size:           2
        .value_kind:     hidden_remainder_z
      - .offset:         80
        .size:           8
        .value_kind:     hidden_global_offset_x
      - .offset:         88
        .size:           8
        .value_kind:     hidden_global_offset_y
      - .offset:         96
        .size:           8
        .value_kind:     hidden_global_offset_z
      - .offset:         104
        .size:           2
        .value_kind:     hidden_grid_dims
    .group_segment_fixed_size: 0
    .kernarg_segment_align: 8
    .kernarg_segment_size: 296
    .language:       OpenCL C
    .language_version:
      - 2
      - 0
    .max_flat_workgroup_size: 256
    .name:           _ZN2ck17naive_gemm_kernelINS_13tensor_layout4gemm8RowMajorES3_S3_DF16_DF16_DF16_fNS_16tensor_operation12element_wise11PassThroughES6_S6_DF16_DF16_EEvPKT2_PKT3_PT4_iiiT6_T7_T8_
    .private_segment_fixed_size: 0
    .sgpr_count:     16
    .sgpr_spill_count: 0
    .symbol:         _ZN2ck17naive_gemm_kernelINS_13tensor_layout4gemm8RowMajorES3_S3_DF16_DF16_DF16_fNS_16tensor_operation12element_wise11PassThroughES6_S6_DF16_DF16_EEvPKT2_PKT3_PT4_iiiT6_T7_T8_.kd
    .uniform_work_group_size: 1
    .uses_dynamic_stack: false
    .vgpr_count:     11
    .vgpr_spill_count: 0
    .wavefront_size: 64
amdhsa.target:   amdgcn-amd-amdhsa--gfx90a
amdhsa.version:
  - 1
  - 2
...

	.end_amdgpu_metadata
